;; amdgpu-corpus repo=ROCm/rocFFT kind=compiled arch=gfx1201 opt=O3
	.text
	.amdgcn_target "amdgcn-amd-amdhsa--gfx1201"
	.amdhsa_code_object_version 6
	.protected	bluestein_single_back_len4050_dim1_dp_op_CI_CI ; -- Begin function bluestein_single_back_len4050_dim1_dp_op_CI_CI
	.globl	bluestein_single_back_len4050_dim1_dp_op_CI_CI
	.p2align	8
	.type	bluestein_single_back_len4050_dim1_dp_op_CI_CI,@function
bluestein_single_back_len4050_dim1_dp_op_CI_CI: ; @bluestein_single_back_len4050_dim1_dp_op_CI_CI
; %bb.0:
	s_load_b128 s[16:19], s[0:1], 0x28
	v_mul_u32_u24_e32 v1, 0x1e6, v0
	s_mov_b32 s2, exec_lo
	v_mov_b32_e32 v3, 0
	s_delay_alu instid0(VALU_DEP_2) | instskip(NEXT) | instid1(VALU_DEP_1)
	v_lshrrev_b32_e32 v1, 16, v1
	v_add_nc_u32_e32 v2, ttmp9, v1
	s_wait_kmcnt 0x0
	s_delay_alu instid0(VALU_DEP_1)
	v_cmpx_gt_u64_e64 s[16:17], v[2:3]
	s_cbranch_execz .LBB0_2
; %bb.1:
	s_clause 0x1
	s_load_b128 s[4:7], s[0:1], 0x18
	s_load_b128 s[8:11], s[0:1], 0x0
	v_mul_lo_u16 v1, 0x87, v1
	s_mov_b32 s20, 0x134454ff
	s_mov_b32 s21, 0x3fee6f0e
	;; [unrolled: 1-line block ×4, first 2 shown]
	v_sub_nc_u16 v117, v0, v1
	s_mov_b32 s23, 0xbfee6f0e
	s_mov_b32 s22, s20
	v_mov_b32_e32 v4, v2
	s_mov_b32 s24, 0x9b97f4a8
	v_and_b32_e32 v7, 0xffff, v117
	s_mov_b32 s25, 0x3fe9e377
	s_mov_b32 s29, 0xbfe9e377
	scratch_store_b64 off, v[4:5], off      ; 8-byte Folded Spill
	s_mov_b32 s28, s24
	s_mov_b32 s27, 0xbfd3c6ef
	s_load_b64 s[0:1], s[0:1], 0x38
	s_wait_kmcnt 0x0
	s_load_b128 s[12:15], s[4:5], 0x0
	s_wait_kmcnt 0x0
	v_mad_co_u64_u32 v[0:1], null, s14, v2, 0
	v_mad_co_u64_u32 v[2:3], null, s12, v7, 0
	s_mul_u64 s[2:3], s[12:13], 0x1950
	s_mul_i32 s4, s13, 0xffff24a0
	s_delay_alu instid0(SALU_CYCLE_1) | instskip(NEXT) | instid1(VALU_DEP_1)
	s_sub_co_i32 s4, s4, s12
	v_mad_co_u64_u32 v[4:5], null, s15, v4, v[1:2]
	v_mov_b32_e32 v248, v7
	s_mov_b32 s14, 0x372fe950
	s_mov_b32 s15, 0x3fd3c6ef
	s_wait_alu 0xfffe
	s_mov_b32 s26, s14
	s_delay_alu instid0(VALU_DEP_2) | instskip(SKIP_2) | instid1(VALU_DEP_3)
	v_mov_b32_e32 v1, v4
	v_mad_co_u64_u32 v[5:6], null, s13, v7, v[3:4]
	v_lshlrev_b32_e32 v116, 4, v248
	v_lshlrev_b64_e32 v[0:1], 4, v[0:1]
	s_delay_alu instid0(VALU_DEP_3) | instskip(NEXT) | instid1(VALU_DEP_2)
	v_mov_b32_e32 v3, v5
	v_add_co_u32 v0, vcc_lo, s18, v0
	s_delay_alu instid0(VALU_DEP_3) | instskip(NEXT) | instid1(VALU_DEP_3)
	v_add_co_ci_u32_e32 v1, vcc_lo, s19, v1, vcc_lo
	v_lshlrev_b64_e32 v[2:3], 4, v[2:3]
	s_mov_b32 s19, 0xbfe2cf23
	s_mov_b32 s18, s16
	s_delay_alu instid0(VALU_DEP_1) | instskip(SKIP_1) | instid1(VALU_DEP_2)
	v_add_co_u32 v4, vcc_lo, v0, v2
	s_wait_alu 0xfffd
	v_add_co_ci_u32_e32 v5, vcc_lo, v1, v3, vcc_lo
	global_load_b128 v[30:33], v116, s[8:9]
	global_load_b128 v[0:3], v[4:5], off
	v_add_co_u32 v8, vcc_lo, v4, s2
	s_wait_alu 0xfffd
	v_add_co_ci_u32_e32 v9, vcc_lo, s3, v5, vcc_lo
	global_load_b128 v[34:37], v116, s[8:9] offset:6480
	global_load_b128 v[4:7], v[8:9], off
	v_add_co_u32 v12, vcc_lo, v8, s2
	s_wait_alu 0xfffd
	v_add_co_ci_u32_e32 v13, vcc_lo, s3, v9, vcc_lo
	global_load_b128 v[38:41], v116, s[8:9] offset:12960
	;; [unrolled: 5-line block ×5, first 2 shown]
	global_load_b128 v[20:23], v[24:25], off
	s_clause 0x10
	global_load_b128 v[54:57], v116, s[8:9] offset:8640
	global_load_b128 v[90:93], v116, s[8:9] offset:4320
	;; [unrolled: 1-line block ×17, first 2 shown]
	s_wait_loadcnt 0x1c
	scratch_store_b128 off, v[30:33], off offset:376 ; 16-byte Folded Spill
	s_wait_loadcnt 0x1b
	v_mul_f64_e32 v[26:27], v[2:3], v[32:33]
	v_mul_f64_e32 v[28:29], v[0:1], v[32:33]
	s_wait_loadcnt 0x1a
	scratch_store_b128 off, v[34:37], off offset:360 ; 16-byte Folded Spill
	s_wait_loadcnt 0x18
	scratch_store_b128 off, v[38:41], off offset:344 ; 16-byte Folded Spill
	;; [unrolled: 2-line block ×7, first 2 shown]
	v_fma_f64 v[0:1], v[0:1], v[30:31], v[26:27]
	v_mul_f64_e32 v[26:27], v[6:7], v[36:37]
	v_fma_f64 v[2:3], v[2:3], v[30:31], -v[28:29]
	v_mul_f64_e32 v[28:29], v[4:5], v[36:37]
	v_add_co_u32 v30, vcc_lo, v24, s2
	s_wait_alu 0xfffd
	v_add_co_ci_u32_e32 v31, vcc_lo, s3, v25, vcc_lo
	s_wait_loadcnt 0x7
	s_clause 0x4
	scratch_store_b128 off, v[106:109], off offset:168
	scratch_store_b128 off, v[58:61], off offset:40
	;; [unrolled: 1-line block ×5, first 2 shown]
	s_wait_loadcnt 0x6
	scratch_store_b128 off, v[74:77], off offset:104 ; 16-byte Folded Spill
	s_wait_loadcnt 0x4
	scratch_store_b128 off, v[78:81], off offset:120 ; 16-byte Folded Spill
	;; [unrolled: 2-line block ×3, first 2 shown]
	s_wait_loadcnt 0x0
	s_clause 0x6
	scratch_store_b128 off, v[86:89], off offset:152
	scratch_store_b128 off, v[94:97], off offset:216
	;; [unrolled: 1-line block ×7, first 2 shown]
	v_fma_f64 v[4:5], v[4:5], v[34:35], v[26:27]
	v_mul_f64_e32 v[26:27], v[10:11], v[40:41]
	v_fma_f64 v[6:7], v[6:7], v[34:35], -v[28:29]
	v_mul_f64_e32 v[28:29], v[8:9], v[40:41]
	global_load_b128 v[34:37], v116, s[8:9] offset:38880
	v_fma_f64 v[8:9], v[8:9], v[38:39], v[26:27]
	v_mul_f64_e32 v[26:27], v[14:15], v[44:45]
	v_fma_f64 v[10:11], v[10:11], v[38:39], -v[28:29]
	v_mul_f64_e32 v[28:29], v[12:13], v[44:45]
	global_load_b128 v[38:41], v116, s[8:9] offset:45360
	;; [unrolled: 5-line block ×4, first 2 shown]
	v_fma_f64 v[20:21], v[20:21], v[50:51], v[26:27]
	global_load_b128 v[24:27], v[30:31], off
	v_fma_f64 v[22:23], v[22:23], v[50:51], -v[28:29]
	global_load_b128 v[50:53], v116, s[8:9] offset:2160
	s_wait_loadcnt 0x5
	scratch_store_b128 off, v[34:37], off offset:424 ; 16-byte Folded Spill
	s_wait_loadcnt 0x4
	scratch_store_b128 off, v[38:41], off offset:440 ; 16-byte Folded Spill
	;; [unrolled: 2-line block ×4, first 2 shown]
	s_wait_loadcnt 0x1
	v_mul_f64_e32 v[32:33], v[24:25], v[36:37]
	v_mul_f64_e32 v[28:29], v[26:27], v[36:37]
	s_wait_loadcnt 0x0
	scratch_store_b128 off, v[50:53], off offset:8 ; 16-byte Folded Spill
	v_fma_f64 v[26:27], v[26:27], v[34:35], -v[32:33]
	v_add_co_u32 v32, vcc_lo, v30, s2
	s_wait_alu 0xfffd
	v_add_co_ci_u32_e32 v33, vcc_lo, s3, v31, vcc_lo
	v_fma_f64 v[24:25], v[24:25], v[34:35], v[28:29]
	global_load_b128 v[28:31], v[32:33], off
	s_wait_loadcnt 0x0
	v_mul_f64_e32 v[36:37], v[28:29], v[40:41]
	v_mul_f64_e32 v[34:35], v[30:31], v[40:41]
	s_delay_alu instid0(VALU_DEP_2) | instskip(SKIP_3) | instid1(VALU_DEP_4)
	v_fma_f64 v[30:31], v[30:31], v[38:39], -v[36:37]
	v_add_co_u32 v36, vcc_lo, v32, s2
	s_wait_alu 0xfffd
	v_add_co_ci_u32_e32 v37, vcc_lo, s3, v33, vcc_lo
	v_fma_f64 v[28:29], v[28:29], v[38:39], v[34:35]
	global_load_b128 v[32:35], v[36:37], off
	s_wait_loadcnt 0x0
	v_mul_f64_e32 v[40:41], v[32:33], v[44:45]
	v_mul_f64_e32 v[38:39], v[34:35], v[44:45]
	s_delay_alu instid0(VALU_DEP_2) | instskip(SKIP_3) | instid1(VALU_DEP_4)
	v_fma_f64 v[34:35], v[34:35], v[42:43], -v[40:41]
	v_add_co_u32 v40, vcc_lo, v36, s2
	s_wait_alu 0xfffd
	v_add_co_ci_u32_e32 v41, vcc_lo, s3, v37, vcc_lo
	v_fma_f64 v[32:33], v[32:33], v[42:43], v[38:39]
	global_load_b128 v[36:39], v[40:41], off
	s_wait_loadcnt 0x0
	v_mul_f64_e32 v[44:45], v[36:37], v[48:49]
	v_mul_f64_e32 v[42:43], v[38:39], v[48:49]
	s_delay_alu instid0(VALU_DEP_2) | instskip(SKIP_1) | instid1(VALU_DEP_3)
	v_fma_f64 v[38:39], v[38:39], v[46:47], -v[44:45]
	v_mad_co_u64_u32 v[44:45], null, 0xffff24a0, s12, v[40:41]
	v_fma_f64 v[36:37], v[36:37], v[46:47], v[42:43]
	s_delay_alu instid0(VALU_DEP_2) | instskip(SKIP_4) | instid1(VALU_DEP_2)
	v_add_nc_u32_e32 v45, s4, v45
	global_load_b128 v[40:43], v[44:45], off
	s_wait_loadcnt 0x0
	v_mul_f64_e32 v[48:49], v[40:41], v[52:53]
	v_mul_f64_e32 v[46:47], v[42:43], v[52:53]
	v_fma_f64 v[42:43], v[42:43], v[50:51], -v[48:49]
	v_add_co_u32 v48, vcc_lo, v44, s2
	s_wait_alu 0xfffd
	v_add_co_ci_u32_e32 v49, vcc_lo, s3, v45, vcc_lo
	s_delay_alu instid0(VALU_DEP_4) | instskip(SKIP_4) | instid1(VALU_DEP_2)
	v_fma_f64 v[40:41], v[40:41], v[50:51], v[46:47]
	global_load_b128 v[44:47], v[48:49], off
	s_wait_loadcnt 0x0
	v_mul_f64_e32 v[52:53], v[44:45], v[56:57]
	v_mul_f64_e32 v[50:51], v[46:47], v[56:57]
	v_fma_f64 v[46:47], v[46:47], v[54:55], -v[52:53]
	v_add_co_u32 v52, vcc_lo, v48, s2
	s_wait_alu 0xfffd
	v_add_co_ci_u32_e32 v53, vcc_lo, s3, v49, vcc_lo
	s_delay_alu instid0(VALU_DEP_4) | instskip(SKIP_4) | instid1(VALU_DEP_2)
	v_fma_f64 v[44:45], v[44:45], v[54:55], v[50:51]
	;; [unrolled: 10-line block ×9, first 2 shown]
	global_load_b128 v[76:79], v[80:81], off
	s_wait_loadcnt 0x0
	v_mul_f64_e32 v[84:85], v[76:77], v[88:89]
	v_mul_f64_e32 v[82:83], v[78:79], v[88:89]
	v_fma_f64 v[78:79], v[78:79], v[86:87], -v[84:85]
	v_mad_co_u64_u32 v[84:85], null, 0xffff24a0, s12, v[80:81]
	s_delay_alu instid0(VALU_DEP_3) | instskip(SKIP_2) | instid1(VALU_DEP_2)
	v_fma_f64 v[76:77], v[76:77], v[86:87], v[82:83]
	s_mov_b32 s12, 0xe8584caa
	s_mov_b32 s13, 0x3febb67a
	v_add_nc_u32_e32 v85, s4, v85
	global_load_b128 v[80:83], v[84:85], off
	s_wait_loadcnt 0x0
	v_mul_f64_e32 v[88:89], v[80:81], v[92:93]
	v_mul_f64_e32 v[86:87], v[82:83], v[92:93]
	s_delay_alu instid0(VALU_DEP_2) | instskip(SKIP_3) | instid1(VALU_DEP_4)
	v_fma_f64 v[82:83], v[82:83], v[90:91], -v[88:89]
	v_add_co_u32 v88, vcc_lo, v84, s2
	s_wait_alu 0xfffd
	v_add_co_ci_u32_e32 v89, vcc_lo, s3, v85, vcc_lo
	v_fma_f64 v[80:81], v[80:81], v[90:91], v[86:87]
	global_load_b128 v[84:87], v[88:89], off
	s_wait_loadcnt 0x0
	v_mul_f64_e32 v[92:93], v[84:85], v[96:97]
	v_mul_f64_e32 v[90:91], v[86:87], v[96:97]
	s_delay_alu instid0(VALU_DEP_2) | instskip(SKIP_3) | instid1(VALU_DEP_4)
	v_fma_f64 v[86:87], v[86:87], v[94:95], -v[92:93]
	v_add_co_u32 v92, vcc_lo, v88, s2
	s_wait_alu 0xfffd
	v_add_co_ci_u32_e32 v93, vcc_lo, s3, v89, vcc_lo
	v_fma_f64 v[84:85], v[84:85], v[94:95], v[90:91]
	;; [unrolled: 10-line block ×6, first 2 shown]
	global_load_b128 v[104:107], v[108:109], off
	s_wait_loadcnt 0x0
	v_mul_f64_e32 v[112:113], v[104:105], v[120:121]
	v_mul_f64_e32 v[110:111], v[106:107], v[120:121]
	global_load_b128 v[120:123], v116, s[8:9] offset:49680
	v_fma_f64 v[106:107], v[106:107], v[118:119], -v[112:113]
	v_add_co_u32 v112, vcc_lo, v108, s2
	s_wait_alu 0xfffd
	v_add_co_ci_u32_e32 v113, vcc_lo, s3, v109, vcc_lo
	v_fma_f64 v[104:105], v[104:105], v[118:119], v[110:111]
	global_load_b128 v[108:111], v[112:113], off
	s_wait_loadcnt 0x1
	scratch_store_b128 off, v[120:123], off offset:280 ; 16-byte Folded Spill
	s_wait_loadcnt 0x0
	v_mul_f64_e32 v[118:119], v[108:109], v[122:123]
	v_mul_f64_e32 v[114:115], v[110:111], v[122:123]
	s_delay_alu instid0(VALU_DEP_2) | instskip(SKIP_3) | instid1(VALU_DEP_4)
	v_fma_f64 v[110:111], v[110:111], v[120:121], -v[118:119]
	v_add_co_u32 v118, vcc_lo, v112, s2
	s_wait_alu 0xfffd
	v_add_co_ci_u32_e32 v119, vcc_lo, s3, v113, vcc_lo
	v_fma_f64 v[108:109], v[108:109], v[120:121], v[114:115]
	global_load_b128 v[112:115], v[118:119], off
	v_add_co_u32 v118, vcc_lo, v118, s2
	s_wait_alu 0xfffd
	v_add_co_ci_u32_e32 v119, vcc_lo, s3, v119, vcc_lo
	v_cmp_gt_u16_e32 vcc_lo, 15, v117
	s_mov_b32 s3, 0xbfebb67a
	s_wait_loadcnt 0x0
	v_mul_f64_e32 v[120:121], v[114:115], v[126:127]
	v_mul_f64_e32 v[122:123], v[112:113], v[126:127]
	s_delay_alu instid0(VALU_DEP_2)
	v_fma_f64 v[112:113], v[112:113], v[124:125], v[120:121]
	global_load_b128 v[118:121], v[118:119], off
	global_load_b128 v[126:129], v116, s[8:9] offset:62640
	v_fma_f64 v[114:115], v[114:115], v[124:125], -v[122:123]
	s_wait_loadcnt 0x0
	v_mul_f64_e32 v[122:123], v[120:121], v[128:129]
	v_mul_f64_e32 v[124:125], v[118:119], v[128:129]
	scratch_store_b128 off, v[126:129], off offset:392 ; 16-byte Folded Spill
	v_fma_f64 v[118:119], v[118:119], v[126:127], v[122:123]
	v_fma_f64 v[120:121], v[120:121], v[126:127], -v[124:125]
	ds_store_b128 v116, v[0:3]
	ds_store_b128 v116, v[4:7] offset:6480
	ds_store_b128 v116, v[8:11] offset:12960
	;; [unrolled: 1-line block ×29, first 2 shown]
	s_load_b128 s[4:7], s[6:7], 0x0
	global_wb scope:SCOPE_SE
	s_wait_storecnt_dscnt 0x0
	s_wait_kmcnt 0x0
	s_barrier_signal -1
	s_barrier_wait -1
	global_inv scope:SCOPE_SE
	ds_load_b128 v[0:3], v116
	ds_load_b128 v[4:7], v116 offset:12960
	ds_load_b128 v[8:11], v116 offset:25920
	s_wait_dscnt 0x1
	v_add_f64_e32 v[12:13], v[0:1], v[4:5]
	s_wait_dscnt 0x0
	v_add_f64_e64 v[48:49], v[4:5], -v[8:9]
	v_add_f64_e64 v[36:37], v[8:9], -v[4:5]
	;; [unrolled: 1-line block ×4, first 2 shown]
	v_add_f64_e32 v[16:17], v[12:13], v[8:9]
	v_add_f64_e32 v[12:13], v[2:3], v[6:7]
	s_delay_alu instid0(VALU_DEP_1)
	v_add_f64_e32 v[18:19], v[12:13], v[10:11]
	ds_load_b128 v[12:15], v116 offset:38880
	s_wait_dscnt 0x0
	v_add_f64_e32 v[68:69], v[8:9], v[12:13]
	v_add_f64_e64 v[20:21], v[10:11], -v[14:15]
	v_add_f64_e32 v[70:71], v[10:11], v[14:15]
	v_add_f64_e64 v[22:23], v[8:9], -v[12:13]
	ds_load_b128 v[8:11], v116 offset:51840
	s_wait_dscnt 0x0
	v_add_f64_e64 v[24:25], v[6:7], -v[10:11]
	v_add_f64_e32 v[74:75], v[4:5], v[8:9]
	v_add_f64_e64 v[26:27], v[4:5], -v[8:9]
	v_add_f64_e32 v[78:79], v[6:7], v[10:11]
	v_add_f64_e32 v[4:5], v[16:17], v[12:13]
	;; [unrolled: 1-line block ×3, first 2 shown]
	v_add_f64_e64 v[56:57], v[8:9], -v[12:13]
	v_add_f64_e64 v[40:41], v[12:13], -v[8:9]
	;; [unrolled: 1-line block ×4, first 2 shown]
	v_fma_f64 v[246:247], v[70:71], -0.5, v[2:3]
	v_fma_f64 v[78:79], v[78:79], -0.5, v[2:3]
	v_add_f64_e32 v[72:73], v[4:5], v[8:9]
	v_add_f64_e32 v[76:77], v[6:7], v[10:11]
	ds_load_b128 v[4:7], v116 offset:6480
	ds_load_b128 v[8:11], v116 offset:19440
	ds_load_b128 v[12:15], v116 offset:32400
	s_wait_dscnt 0x1
	v_add_f64_e32 v[16:17], v[4:5], v[8:9]
	s_wait_dscnt 0x0
	v_add_f64_e64 v[60:61], v[8:9], -v[12:13]
	v_add_f64_e64 v[44:45], v[12:13], -v[8:9]
	;; [unrolled: 1-line block ×4, first 2 shown]
	v_add_f64_e32 v[52:53], v[16:17], v[12:13]
	v_add_f64_e32 v[16:17], v[6:7], v[10:11]
	s_delay_alu instid0(VALU_DEP_1)
	v_add_f64_e32 v[54:55], v[16:17], v[14:15]
	ds_load_b128 v[16:19], v116 offset:45360
	s_wait_dscnt 0x0
	v_add_f64_e32 v[80:81], v[12:13], v[16:17]
	v_add_f64_e64 v[28:29], v[14:15], -v[18:19]
	v_add_f64_e32 v[82:83], v[14:15], v[18:19]
	v_add_f64_e64 v[30:31], v[12:13], -v[16:17]
	ds_load_b128 v[12:15], v116 offset:58320
	s_wait_dscnt 0x0
	v_add_f64_e64 v[34:35], v[10:11], -v[14:15]
	v_add_f64_e32 v[84:85], v[8:9], v[12:13]
	v_add_f64_e64 v[32:33], v[8:9], -v[12:13]
	v_add_f64_e32 v[86:87], v[10:11], v[14:15]
	v_add_f64_e32 v[8:9], v[52:53], v[16:17]
	;; [unrolled: 1-line block ×3, first 2 shown]
	v_add_f64_e64 v[64:65], v[12:13], -v[16:17]
	v_add_f64_e64 v[52:53], v[16:17], -v[12:13]
	;; [unrolled: 1-line block ×4, first 2 shown]
	v_fma_f64 v[80:81], v[80:81], -0.5, v[4:5]
	v_fma_f64 v[82:83], v[82:83], -0.5, v[6:7]
	;; [unrolled: 1-line block ×4, first 2 shown]
	v_add_f64_e32 v[88:89], v[8:9], v[12:13]
	v_add_f64_e32 v[90:91], v[10:11], v[14:15]
	ds_load_b128 v[8:11], v116 offset:2160
	ds_load_b128 v[12:15], v116 offset:15120
	;; [unrolled: 1-line block ×4, first 2 shown]
	v_add_f64_e32 v[46:47], v[46:47], v[54:55]
	v_add_f64_e32 v[44:45], v[44:45], v[52:53]
	s_wait_dscnt 0x2
	v_add_f64_e32 v[92:93], v[8:9], v[12:13]
	s_wait_dscnt 0x1
	v_add_f64_e64 v[100:101], v[12:13], -v[16:17]
	s_wait_dscnt 0x0
	v_add_f64_e32 v[140:141], v[16:17], v[108:109]
	v_add_f64_e64 v[96:97], v[16:17], -v[12:13]
	v_add_f64_e32 v[142:143], v[18:19], v[110:111]
	v_add_f64_e64 v[94:95], v[16:17], -v[108:109]
	v_add_f64_e64 v[102:103], v[14:15], -v[18:19]
	;; [unrolled: 1-line block ×4, first 2 shown]
	v_add_f64_e32 v[2:3], v[76:77], v[90:91]
	v_add_f64_e64 v[6:7], v[76:77], -v[90:91]
	v_add_f64_e32 v[112:113], v[92:93], v[16:17]
	v_add_f64_e32 v[92:93], v[10:11], v[14:15]
	v_fma_f64 v[76:77], v[140:141], -0.5, v[8:9]
	v_fma_f64 v[90:91], v[142:143], -0.5, v[10:11]
	s_delay_alu instid0(VALU_DEP_3)
	v_add_f64_e32 v[114:115], v[92:93], v[18:19]
	v_add_f64_e64 v[92:93], v[18:19], -v[110:111]
	ds_load_b128 v[16:19], v116 offset:54000
	s_wait_dscnt 0x0
	v_add_f64_e64 v[104:105], v[14:15], -v[18:19]
	v_add_f64_e32 v[152:153], v[12:13], v[16:17]
	v_add_f64_e64 v[106:107], v[12:13], -v[16:17]
	v_add_f64_e32 v[154:155], v[14:15], v[18:19]
	v_add_f64_e32 v[12:13], v[112:113], v[108:109]
	v_add_f64_e64 v[124:125], v[16:17], -v[108:109]
	v_add_f64_e64 v[200:201], v[108:109], -v[16:17]
	;; [unrolled: 1-line block ×4, first 2 shown]
	v_add_f64_e32 v[14:15], v[114:115], v[110:111]
	v_fma_f64 v[140:141], v[154:155], -0.5, v[10:11]
	v_add_f64_e32 v[148:149], v[12:13], v[16:17]
	s_delay_alu instid0(VALU_DEP_3)
	v_add_f64_e32 v[150:151], v[14:15], v[18:19]
	ds_load_b128 v[12:15], v116 offset:8640
	ds_load_b128 v[16:19], v116 offset:21600
	;; [unrolled: 1-line block ×5, first 2 shown]
	s_wait_dscnt 0x3
	v_add_f64_e32 v[108:109], v[12:13], v[16:17]
	s_wait_dscnt 0x2
	v_add_f64_e64 v[132:133], v[16:17], -v[110:111]
	v_add_f64_e64 v[120:121], v[110:111], -v[16:17]
	s_wait_dscnt 0x1
	v_add_f64_e32 v[160:161], v[112:113], v[130:131]
	v_add_f64_e64 v[134:135], v[18:19], -v[112:113]
	v_add_f64_e64 v[122:123], v[112:113], -v[18:19]
	s_wait_dscnt 0x0
	v_add_f64_e64 v[114:115], v[18:19], -v[146:147]
	v_add_f64_e32 v[168:169], v[16:17], v[144:145]
	v_add_f64_e32 v[170:171], v[18:19], v[146:147]
	;; [unrolled: 1-line block ×5, first 2 shown]
	v_add_f64_e64 v[110:111], v[110:111], -v[128:129]
	v_fma_f64 v[154:155], v[160:161], -0.5, v[14:15]
	v_fma_f64 v[142:143], v[156:157], -0.5, v[12:13]
	;; [unrolled: 1-line block ×3, first 2 shown]
	v_add_f64_e32 v[138:139], v[108:109], v[112:113]
	v_add_f64_e64 v[108:109], v[112:113], -v[130:131]
	v_add_f64_e64 v[112:113], v[16:17], -v[144:145]
	v_add_f64_e32 v[16:17], v[136:137], v[128:129]
	v_add_f64_e64 v[136:137], v[144:145], -v[128:129]
	v_add_f64_e64 v[128:129], v[128:129], -v[144:145]
	v_add_f64_e32 v[18:19], v[138:139], v[130:131]
	v_add_f64_e64 v[138:139], v[146:147], -v[130:131]
	v_add_f64_e64 v[130:131], v[130:131], -v[146:147]
	v_add_f64_e32 v[164:165], v[16:17], v[144:145]
	s_delay_alu instid0(VALU_DEP_4)
	v_add_f64_e32 v[166:167], v[18:19], v[146:147]
	ds_load_b128 v[16:19], v116 offset:4320
	ds_load_b128 v[180:183], v116 offset:17280
	;; [unrolled: 1-line block ×9, first 2 shown]
	s_wait_dscnt 0x7
	v_add_f64_e32 v[144:145], v[16:17], v[180:181]
	s_wait_dscnt 0x6
	v_add_f64_e64 v[176:177], v[180:181], -v[172:173]
	s_wait_dscnt 0x5
	v_add_f64_e32 v[218:219], v[172:173], v[186:187]
	v_add_f64_e64 v[158:159], v[172:173], -v[180:181]
	v_add_f64_e32 v[220:221], v[174:175], v[188:189]
	v_add_f64_e64 v[146:147], v[172:173], -v[186:187]
	v_add_f64_e64 v[178:179], v[182:183], -v[174:175]
	;; [unrolled: 1-line block ×3, first 2 shown]
	s_wait_dscnt 0x4
	v_add_f64_e32 v[222:223], v[180:181], v[190:191]
	v_add_f64_e32 v[224:225], v[182:183], v[192:193]
	s_wait_dscnt 0x0
	v_add_f64_e32 v[234:235], v[210:211], v[214:215]
	v_add_f64_e32 v[236:237], v[212:213], v[216:217]
	v_add_f64_e64 v[198:199], v[208:209], -v[212:213]
	v_add_f64_e32 v[184:185], v[144:145], v[172:173]
	v_add_f64_e32 v[144:145], v[18:19], v[182:183]
	v_add_f64_e64 v[172:173], v[182:183], -v[192:193]
	v_add_f64_e64 v[182:183], v[188:189], -v[192:193]
	v_fma_f64 v[160:161], v[218:219], -0.5, v[16:17]
	v_fma_f64 v[170:171], v[220:221], -0.5, v[18:19]
	;; [unrolled: 1-line block ×4, first 2 shown]
	v_add_f64_e32 v[196:197], v[184:185], v[186:187]
	v_add_f64_e32 v[194:195], v[144:145], v[174:175]
	v_add_f64_e64 v[144:145], v[174:175], -v[188:189]
	v_add_f64_e64 v[174:175], v[180:181], -v[190:191]
	;; [unrolled: 1-line block ×5, first 2 shown]
	v_add_f64_e32 v[226:227], v[196:197], v[190:191]
	v_add_f64_e32 v[194:195], v[194:195], v[188:189]
	;; [unrolled: 1-line block ×3, first 2 shown]
	v_add_f64_e64 v[196:197], v[206:207], -v[210:211]
	v_add_f64_e64 v[190:191], v[210:211], -v[214:215]
	s_delay_alu instid0(VALU_DEP_4) | instskip(NEXT) | instid1(VALU_DEP_4)
	v_add_f64_e32 v[228:229], v[194:195], v[192:193]
	v_add_f64_e32 v[230:231], v[188:189], v[210:211]
	;; [unrolled: 1-line block ×3, first 2 shown]
	v_add_f64_e64 v[192:193], v[210:211], -v[206:207]
	v_add_f64_e64 v[194:195], v[212:213], -v[208:209]
	s_delay_alu instid0(VALU_DEP_4) | instskip(NEXT) | instid1(VALU_DEP_4)
	v_add_f64_e32 v[230:231], v[230:231], v[214:215]
	v_add_f64_e32 v[232:233], v[188:189], v[212:213]
	v_add_f64_e64 v[188:189], v[212:213], -v[216:217]
	ds_load_b128 v[210:213], v116 offset:62640
	global_wb scope:SCOPE_SE
	s_wait_dscnt 0x0
	s_barrier_signal -1
	s_barrier_wait -1
	global_inv scope:SCOPE_SE
	v_add_f64_e64 v[238:239], v[208:209], -v[212:213]
	v_add_f64_e32 v[240:241], v[206:207], v[210:211]
	v_add_f64_e64 v[206:207], v[206:207], -v[210:211]
	v_add_f64_e32 v[208:209], v[208:209], v[212:213]
	v_add_f64_e64 v[242:243], v[210:211], -v[214:215]
	v_add_f64_e64 v[214:215], v[214:215], -v[210:211]
	;; [unrolled: 1-line block ×3, first 2 shown]
	v_add_f64_e32 v[210:211], v[230:231], v[210:211]
	v_add_f64_e32 v[232:233], v[232:233], v[216:217]
	v_add_f64_e64 v[216:217], v[216:217], -v[212:213]
	v_fma_f64 v[230:231], v[68:69], -0.5, v[0:1]
	v_fma_f64 v[202:203], v[240:241], -0.5, v[202:203]
	v_add_f64_e32 v[68:69], v[226:227], v[210:211]
	v_add_f64_e32 v[212:213], v[232:233], v[212:213]
	v_fma_f64 v[232:233], v[74:75], -0.5, v[0:1]
	v_add_f64_e32 v[0:1], v[72:73], v[88:89]
	v_fma_f64 v[88:89], v[152:153], -0.5, v[8:9]
	v_mul_lo_u16 v8, v117, 10
	v_fma_f64 v[152:153], v[168:169], -0.5, v[12:13]
	v_fma_f64 v[168:169], v[222:223], -0.5, v[16:17]
	;; [unrolled: 1-line block ×3, first 2 shown]
	v_add_f64_e32 v[17:18], v[48:49], v[56:57]
	v_and_b32_e32 v8, 0xffff, v8
	v_add_f64_e32 v[56:57], v[50:51], v[58:59]
	v_add_f64_e32 v[58:59], v[60:61], v[64:65]
	v_add_f64_e32 v[60:61], v[62:63], v[66:67]
	v_add_f64_e32 v[66:67], v[122:123], v[130:131]
	v_lshlrev_b32_e32 v237, 4, v8
	ds_store_b128 v237, v[0:3]
	ds_store_b128 v237, v[4:7] offset:80
	v_fma_f64 v[0:1], v[34:35], s[20:21], v[80:81]
	v_fma_f64 v[2:3], v[32:33], s[22:23], v[82:83]
	v_add_f64_e32 v[64:65], v[120:121], v[128:129]
	v_add_f64_e32 v[62:63], v[98:99], v[118:119]
	v_fma_f64 v[204:205], v[208:209], -0.5, v[204:205]
	v_fma_f64 v[120:121], v[174:175], s[20:21], v[170:171]
	v_fma_f64 v[122:123], v[206:207], s[20:21], v[222:223]
	v_add_f64_e32 v[9:10], v[148:149], v[164:165]
	v_add_f64_e32 v[11:12], v[150:151], v[166:167]
	v_add_f64_e64 v[13:14], v[148:149], -v[164:165]
	v_add_f64_e64 v[15:16], v[150:151], -v[166:167]
	v_add_co_u32 v8, s31, 0x87, v248
	v_add_f64_e32 v[70:71], v[228:229], v[212:213]
	v_add_f64_e64 v[72:73], v[226:227], -v[210:211]
	v_add_f64_e64 v[74:75], v[228:229], -v[212:213]
	v_fma_f64 v[0:1], v[28:29], s[16:17], v[0:1]
	v_fma_f64 v[2:3], v[30:31], s[18:19], v[2:3]
	;; [unrolled: 1-line block ×4, first 2 shown]
	s_delay_alu instid0(VALU_DEP_4) | instskip(NEXT) | instid1(VALU_DEP_4)
	v_fma_f64 v[0:1], v[58:59], s[14:15], v[0:1]
	v_fma_f64 v[2:3], v[60:61], s[14:15], v[2:3]
	s_delay_alu instid0(VALU_DEP_2) | instskip(SKIP_1) | instid1(VALU_DEP_2)
	v_mul_f64_e32 v[4:5], s[24:25], v[0:1]
	v_mul_f64_e32 v[0:1], s[18:19], v[0:1]
	v_fma_f64 v[4:5], v[2:3], s[16:17], v[4:5]
	s_delay_alu instid0(VALU_DEP_2) | instskip(SKIP_2) | instid1(VALU_DEP_2)
	v_fma_f64 v[6:7], v[2:3], s[24:25], v[0:1]
	v_fma_f64 v[0:1], v[24:25], s[20:21], v[230:231]
	;; [unrolled: 1-line block ×4, first 2 shown]
	s_delay_alu instid0(VALU_DEP_2) | instskip(NEXT) | instid1(VALU_DEP_2)
	v_fma_f64 v[2:3], v[22:23], s[18:19], v[2:3]
	v_fma_f64 v[48:49], v[17:18], s[14:15], v[0:1]
	s_delay_alu instid0(VALU_DEP_2) | instskip(NEXT) | instid1(VALU_DEP_2)
	v_fma_f64 v[50:51], v[56:57], s[14:15], v[2:3]
	v_add_f64_e32 v[0:1], v[48:49], v[4:5]
	v_add_f64_e64 v[4:5], v[48:49], -v[4:5]
	v_add_f64_e32 v[48:49], v[36:37], v[40:41]
	v_fma_f64 v[36:37], v[30:31], s[20:21], v[86:87]
	v_add_f64_e32 v[2:3], v[50:51], v[6:7]
	v_add_f64_e64 v[6:7], v[50:51], -v[6:7]
	v_add_f64_e32 v[50:51], v[38:39], v[42:43]
	v_fma_f64 v[38:39], v[28:29], s[22:23], v[84:85]
	v_fma_f64 v[36:37], v[32:33], s[18:19], v[36:37]
	s_delay_alu instid0(VALU_DEP_2) | instskip(NEXT) | instid1(VALU_DEP_2)
	v_fma_f64 v[38:39], v[34:35], s[16:17], v[38:39]
	v_fma_f64 v[36:37], v[46:47], s[14:15], v[36:37]
	s_delay_alu instid0(VALU_DEP_2) | instskip(NEXT) | instid1(VALU_DEP_2)
	v_fma_f64 v[38:39], v[44:45], s[14:15], v[38:39]
	v_mul_f64_e32 v[40:41], s[20:21], v[36:37]
	s_delay_alu instid0(VALU_DEP_1) | instskip(SKIP_1) | instid1(VALU_DEP_1)
	v_fma_f64 v[40:41], v[38:39], s[14:15], v[40:41]
	v_mul_f64_e32 v[38:39], s[22:23], v[38:39]
	v_fma_f64 v[42:43], v[36:37], s[14:15], v[38:39]
	v_fma_f64 v[36:37], v[20:21], s[22:23], v[232:233]
	;; [unrolled: 1-line block ×3, first 2 shown]
	s_delay_alu instid0(VALU_DEP_2) | instskip(NEXT) | instid1(VALU_DEP_2)
	v_fma_f64 v[36:37], v[24:25], s[16:17], v[36:37]
	v_fma_f64 v[38:39], v[26:27], s[18:19], v[38:39]
	s_delay_alu instid0(VALU_DEP_2) | instskip(NEXT) | instid1(VALU_DEP_2)
	v_fma_f64 v[52:53], v[48:49], s[14:15], v[36:37]
	v_fma_f64 v[54:55], v[50:51], s[14:15], v[38:39]
	s_delay_alu instid0(VALU_DEP_2) | instskip(SKIP_2) | instid1(VALU_DEP_4)
	v_add_f64_e32 v[36:37], v[52:53], v[40:41]
	v_add_f64_e64 v[40:41], v[52:53], -v[40:41]
	v_fma_f64 v[52:53], v[20:21], s[20:21], v[232:233]
	v_add_f64_e32 v[38:39], v[54:55], v[42:43]
	v_add_f64_e64 v[42:43], v[54:55], -v[42:43]
	s_delay_alu instid0(VALU_DEP_3) | instskip(SKIP_1) | instid1(VALU_DEP_2)
	v_fma_f64 v[52:53], v[24:25], s[18:19], v[52:53]
	v_fma_f64 v[24:25], v[24:25], s[22:23], v[230:231]
	v_fma_f64 v[48:49], v[48:49], s[14:15], v[52:53]
	v_fma_f64 v[52:53], v[22:23], s[22:23], v[78:79]
	s_delay_alu instid0(VALU_DEP_3) | instskip(SKIP_2) | instid1(VALU_DEP_4)
	v_fma_f64 v[19:20], v[20:21], s[18:19], v[24:25]
	v_add_f64_e32 v[78:79], v[102:103], v[126:127]
	v_add_f64_e32 v[102:103], v[162:163], v[182:183]
	v_fma_f64 v[52:53], v[26:27], s[16:17], v[52:53]
	v_fma_f64 v[26:27], v[26:27], s[20:21], v[246:247]
	s_delay_alu instid0(VALU_DEP_2) | instskip(SKIP_1) | instid1(VALU_DEP_3)
	v_fma_f64 v[50:51], v[50:51], s[14:15], v[52:53]
	v_fma_f64 v[52:53], v[28:29], s[20:21], v[84:85]
	;; [unrolled: 1-line block ×3, first 2 shown]
	s_delay_alu instid0(VALU_DEP_2) | instskip(SKIP_2) | instid1(VALU_DEP_3)
	v_fma_f64 v[52:53], v[34:35], s[18:19], v[52:53]
	v_fma_f64 v[34:35], v[34:35], s[22:23], v[80:81]
	v_add_f64_e32 v[80:81], v[132:133], v[136:137]
	v_fma_f64 v[44:45], v[44:45], s[14:15], v[52:53]
	v_fma_f64 v[52:53], v[30:31], s[22:23], v[86:87]
	s_delay_alu instid0(VALU_DEP_4) | instskip(NEXT) | instid1(VALU_DEP_2)
	v_fma_f64 v[28:29], v[28:29], s[18:19], v[34:35]
	v_fma_f64 v[52:53], v[32:33], s[16:17], v[52:53]
	;; [unrolled: 1-line block ×3, first 2 shown]
	s_delay_alu instid0(VALU_DEP_3)
	v_fma_f64 v[25:26], v[58:59], s[14:15], v[28:29]
	v_fma_f64 v[27:28], v[17:18], s[14:15], v[19:20]
	v_add_f64_e32 v[82:83], v[134:135], v[138:139]
	v_fma_f64 v[46:47], v[46:47], s[14:15], v[52:53]
	v_fma_f64 v[23:24], v[30:31], s[16:17], v[32:33]
	v_mul_f64_e32 v[19:20], s[28:29], v[25:26]
	v_fma_f64 v[29:30], v[56:57], s[14:15], v[21:22]
	v_mul_f64_e32 v[52:53], s[26:27], v[44:45]
	v_add_f64_e32 v[33:34], v[100:101], v[124:125]
	v_add_f64_e32 v[100:101], v[158:159], v[180:181]
	v_fma_f64 v[17:18], v[60:61], s[14:15], v[23:24]
	v_add_f64_e32 v[60:61], v[96:97], v[200:201]
	v_fma_f64 v[52:53], v[46:47], s[20:21], v[52:53]
	v_mul_f64_e32 v[46:47], s[26:27], v[46:47]
	s_delay_alu instid0(VALU_DEP_4) | instskip(SKIP_1) | instid1(VALU_DEP_3)
	v_fma_f64 v[21:22], v[17:18], s[16:17], v[19:20]
	v_mul_f64_e32 v[17:18], s[28:29], v[17:18]
	v_fma_f64 v[54:55], v[44:45], s[22:23], v[46:47]
	v_add_f64_e32 v[44:45], v[48:49], v[52:53]
	v_add_f64_e64 v[48:49], v[48:49], -v[52:53]
	s_delay_alu instid0(VALU_DEP_4)
	v_fma_f64 v[23:24], v[25:26], s[18:19], v[17:18]
	v_fma_f64 v[25:26], v[114:115], s[20:21], v[142:143]
	v_add_f64_e32 v[17:18], v[27:28], v[21:22]
	v_add_f64_e64 v[21:22], v[27:28], -v[21:22]
	v_fma_f64 v[27:28], v[112:113], s[22:23], v[154:155]
	v_add_f64_e32 v[46:47], v[50:51], v[54:55]
	v_add_f64_e64 v[50:51], v[50:51], -v[54:55]
	v_add_f64_e32 v[19:20], v[29:30], v[23:24]
	v_fma_f64 v[25:26], v[108:109], s[16:17], v[25:26]
	v_add_f64_e64 v[23:24], v[29:30], -v[23:24]
	ds_store_b128 v237, v[0:3] offset:16
	ds_store_b128 v237, v[36:39] offset:32
	;; [unrolled: 1-line block ×8, first 2 shown]
	v_fma_f64 v[27:28], v[110:111], s[18:19], v[27:28]
	v_mul_u32_u24_e32 v0, 10, v8
	v_fma_f64 v[25:26], v[80:81], s[14:15], v[25:26]
	s_delay_alu instid0(VALU_DEP_3) | instskip(NEXT) | instid1(VALU_DEP_2)
	v_fma_f64 v[27:28], v[82:83], s[14:15], v[27:28]
	v_mul_f64_e32 v[29:30], s[24:25], v[25:26]
	v_mul_f64_e32 v[25:26], s[18:19], v[25:26]
	s_delay_alu instid0(VALU_DEP_2) | instskip(NEXT) | instid1(VALU_DEP_2)
	v_fma_f64 v[29:30], v[27:28], s[16:17], v[29:30]
	v_fma_f64 v[31:32], v[27:28], s[24:25], v[25:26]
	;; [unrolled: 1-line block ×5, first 2 shown]
	s_delay_alu instid0(VALU_DEP_3) | instskip(NEXT) | instid1(VALU_DEP_3)
	v_fma_f64 v[25:26], v[92:93], s[16:17], v[25:26]
	v_fma_f64 v[27:28], v[94:95], s[18:19], v[27:28]
	s_delay_alu instid0(VALU_DEP_3) | instskip(NEXT) | instid1(VALU_DEP_3)
	v_fma_f64 v[76:77], v[92:93], s[18:19], v[76:77]
	v_fma_f64 v[52:53], v[33:34], s[14:15], v[25:26]
	;; [unrolled: 3-line block ×3, first 2 shown]
	s_delay_alu instid0(VALU_DEP_3)
	v_add_f64_e32 v[25:26], v[52:53], v[29:30]
	v_add_f64_e64 v[29:30], v[52:53], -v[29:30]
	v_fma_f64 v[52:53], v[110:111], s[20:21], v[156:157]
	v_add_f64_e32 v[27:28], v[54:55], v[31:32]
	v_add_f64_e64 v[31:32], v[54:55], -v[31:32]
	v_fma_f64 v[54:55], v[108:109], s[22:23], v[152:153]
	s_delay_alu instid0(VALU_DEP_4) | instskip(NEXT) | instid1(VALU_DEP_2)
	v_fma_f64 v[52:53], v[112:113], s[18:19], v[52:53]
	v_fma_f64 v[54:55], v[114:115], s[16:17], v[54:55]
	s_delay_alu instid0(VALU_DEP_2) | instskip(NEXT) | instid1(VALU_DEP_2)
	v_fma_f64 v[52:53], v[66:67], s[14:15], v[52:53]
	v_fma_f64 v[54:55], v[64:65], s[14:15], v[54:55]
	s_delay_alu instid0(VALU_DEP_2) | instskip(NEXT) | instid1(VALU_DEP_1)
	v_mul_f64_e32 v[56:57], s[20:21], v[52:53]
	v_fma_f64 v[56:57], v[54:55], s[14:15], v[56:57]
	v_mul_f64_e32 v[54:55], s[22:23], v[54:55]
	s_delay_alu instid0(VALU_DEP_1) | instskip(SKIP_2) | instid1(VALU_DEP_2)
	v_fma_f64 v[58:59], v[52:53], s[14:15], v[54:55]
	v_fma_f64 v[52:53], v[92:93], s[22:23], v[88:89]
	;; [unrolled: 1-line block ×4, first 2 shown]
	s_delay_alu instid0(VALU_DEP_2) | instskip(NEXT) | instid1(VALU_DEP_2)
	v_fma_f64 v[54:55], v[106:107], s[18:19], v[54:55]
	v_fma_f64 v[84:85], v[60:61], s[14:15], v[52:53]
	s_delay_alu instid0(VALU_DEP_2) | instskip(NEXT) | instid1(VALU_DEP_2)
	v_fma_f64 v[86:87], v[62:63], s[14:15], v[54:55]
	v_add_f64_e32 v[52:53], v[84:85], v[56:57]
	v_add_f64_e64 v[56:57], v[84:85], -v[56:57]
	v_fma_f64 v[84:85], v[92:93], s[20:21], v[88:89]
	s_delay_alu instid0(VALU_DEP_4) | instskip(SKIP_2) | instid1(VALU_DEP_4)
	v_add_f64_e32 v[54:55], v[86:87], v[58:59]
	v_add_f64_e64 v[58:59], v[86:87], -v[58:59]
	v_fma_f64 v[88:89], v[112:113], s[20:21], v[154:155]
	v_fma_f64 v[84:85], v[104:105], s[18:19], v[84:85]
	v_add_f64_e32 v[104:105], v[192:193], v[214:215]
	s_delay_alu instid0(VALU_DEP_3) | instskip(NEXT) | instid1(VALU_DEP_3)
	v_fma_f64 v[88:89], v[110:111], s[16:17], v[88:89]
	v_fma_f64 v[84:85], v[60:61], s[14:15], v[84:85]
	;; [unrolled: 1-line block ×3, first 2 shown]
	s_delay_alu instid0(VALU_DEP_3) | instskip(NEXT) | instid1(VALU_DEP_2)
	v_fma_f64 v[76:77], v[82:83], s[14:15], v[88:89]
	v_fma_f64 v[60:61], v[106:107], s[16:17], v[60:61]
	s_delay_alu instid0(VALU_DEP_1) | instskip(SKIP_3) | instid1(VALU_DEP_3)
	v_fma_f64 v[86:87], v[62:63], s[14:15], v[60:61]
	v_fma_f64 v[60:61], v[108:109], s[20:21], v[152:153]
	;; [unrolled: 1-line block ×3, first 2 shown]
	v_add_f64_e32 v[110:111], v[196:197], v[242:243]
	v_fma_f64 v[60:61], v[114:115], s[18:19], v[60:61]
	s_delay_alu instid0(VALU_DEP_3) | instskip(SKIP_1) | instid1(VALU_DEP_3)
	v_fma_f64 v[62:63], v[112:113], s[16:17], v[62:63]
	v_add_f64_e32 v[112:113], v[198:199], v[244:245]
	v_fma_f64 v[60:61], v[64:65], s[14:15], v[60:61]
	s_delay_alu instid0(VALU_DEP_3) | instskip(NEXT) | instid1(VALU_DEP_2)
	v_fma_f64 v[62:63], v[66:67], s[14:15], v[62:63]
	v_mul_f64_e32 v[64:65], s[26:27], v[60:61]
	s_delay_alu instid0(VALU_DEP_1) | instskip(SKIP_1) | instid1(VALU_DEP_1)
	v_fma_f64 v[64:65], v[62:63], s[20:21], v[64:65]
	v_mul_f64_e32 v[62:63], s[26:27], v[62:63]
	v_fma_f64 v[66:67], v[60:61], s[22:23], v[62:63]
	s_delay_alu instid0(VALU_DEP_3) | instskip(SKIP_2) | instid1(VALU_DEP_4)
	v_add_f64_e32 v[60:61], v[84:85], v[64:65]
	v_add_f64_e64 v[64:65], v[84:85], -v[64:65]
	v_fma_f64 v[84:85], v[114:115], s[22:23], v[142:143]
	v_add_f64_e32 v[62:63], v[86:87], v[66:67]
	v_add_f64_e64 v[66:67], v[86:87], -v[66:67]
	v_fma_f64 v[86:87], v[106:107], s[20:21], v[90:91]
	s_delay_alu instid0(VALU_DEP_4) | instskip(SKIP_2) | instid1(VALU_DEP_4)
	v_fma_f64 v[84:85], v[108:109], s[18:19], v[84:85]
	v_add_f64_e32 v[108:109], v[178:179], v[186:187]
	v_add_f64_e32 v[106:107], v[194:195], v[216:217]
	v_fma_f64 v[86:87], v[94:95], s[16:17], v[86:87]
	s_delay_alu instid0(VALU_DEP_4) | instskip(NEXT) | instid1(VALU_DEP_2)
	v_fma_f64 v[80:81], v[80:81], s[14:15], v[84:85]
	v_fma_f64 v[84:85], v[78:79], s[14:15], v[86:87]
	s_delay_alu instid0(VALU_DEP_2) | instskip(NEXT) | instid1(VALU_DEP_1)
	v_mul_f64_e32 v[78:79], s[28:29], v[80:81]
	v_fma_f64 v[82:83], v[76:77], s[16:17], v[78:79]
	v_mul_f64_e32 v[76:77], s[28:29], v[76:77]
	s_delay_alu instid0(VALU_DEP_1) | instskip(NEXT) | instid1(VALU_DEP_3)
	v_fma_f64 v[86:87], v[80:81], s[18:19], v[76:77]
	v_add_f64_e32 v[76:77], v[33:34], v[82:83]
	v_add_f64_e64 v[80:81], v[33:34], -v[82:83]
	v_add_f64_e32 v[33:34], v[176:177], v[184:185]
	s_delay_alu instid0(VALU_DEP_4) | instskip(SKIP_3) | instid1(VALU_DEP_2)
	v_add_f64_e32 v[78:79], v[84:85], v[86:87]
	v_add_f64_e64 v[82:83], v[84:85], -v[86:87]
	v_fma_f64 v[84:85], v[238:239], s[20:21], v[220:221]
	v_fma_f64 v[86:87], v[206:207], s[22:23], v[222:223]
	;; [unrolled: 1-line block ×3, first 2 shown]
	s_delay_alu instid0(VALU_DEP_2) | instskip(NEXT) | instid1(VALU_DEP_2)
	v_fma_f64 v[86:87], v[190:191], s[18:19], v[86:87]
	v_fma_f64 v[84:85], v[110:111], s[14:15], v[84:85]
	s_delay_alu instid0(VALU_DEP_2) | instskip(NEXT) | instid1(VALU_DEP_2)
	v_fma_f64 v[86:87], v[112:113], s[14:15], v[86:87]
	v_mul_f64_e32 v[88:89], s[24:25], v[84:85]
	v_mul_f64_e32 v[84:85], s[18:19], v[84:85]
	s_delay_alu instid0(VALU_DEP_2) | instskip(NEXT) | instid1(VALU_DEP_2)
	v_fma_f64 v[88:89], v[86:87], s[16:17], v[88:89]
	v_fma_f64 v[90:91], v[86:87], s[24:25], v[84:85]
	;; [unrolled: 1-line block ×4, first 2 shown]
	s_delay_alu instid0(VALU_DEP_2) | instskip(NEXT) | instid1(VALU_DEP_2)
	v_fma_f64 v[84:85], v[144:145], s[16:17], v[84:85]
	v_fma_f64 v[86:87], v[146:147], s[18:19], v[86:87]
	s_delay_alu instid0(VALU_DEP_2) | instskip(NEXT) | instid1(VALU_DEP_2)
	v_fma_f64 v[92:93], v[33:34], s[14:15], v[84:85]
	v_fma_f64 v[94:95], v[108:109], s[14:15], v[86:87]
	s_delay_alu instid0(VALU_DEP_2) | instskip(SKIP_2) | instid1(VALU_DEP_4)
	v_add_f64_e32 v[84:85], v[92:93], v[88:89]
	v_add_f64_e64 v[88:89], v[92:93], -v[88:89]
	v_fma_f64 v[92:93], v[190:191], s[20:21], v[204:205]
	v_add_f64_e32 v[86:87], v[94:95], v[90:91]
	v_add_f64_e64 v[90:91], v[94:95], -v[90:91]
	v_fma_f64 v[94:95], v[188:189], s[22:23], v[202:203]
	s_delay_alu instid0(VALU_DEP_4) | instskip(NEXT) | instid1(VALU_DEP_2)
	v_fma_f64 v[92:93], v[206:207], s[18:19], v[92:93]
	v_fma_f64 v[94:95], v[238:239], s[16:17], v[94:95]
	s_delay_alu instid0(VALU_DEP_2) | instskip(NEXT) | instid1(VALU_DEP_2)
	v_fma_f64 v[92:93], v[106:107], s[14:15], v[92:93]
	v_fma_f64 v[94:95], v[104:105], s[14:15], v[94:95]
	s_delay_alu instid0(VALU_DEP_2) | instskip(NEXT) | instid1(VALU_DEP_1)
	v_mul_f64_e32 v[96:97], s[20:21], v[92:93]
	v_fma_f64 v[96:97], v[94:95], s[14:15], v[96:97]
	v_mul_f64_e32 v[94:95], s[22:23], v[94:95]
	s_delay_alu instid0(VALU_DEP_1) | instskip(SKIP_2) | instid1(VALU_DEP_2)
	v_fma_f64 v[98:99], v[92:93], s[14:15], v[94:95]
	v_fma_f64 v[92:93], v[144:145], s[22:23], v[168:169]
	;; [unrolled: 1-line block ×4, first 2 shown]
	s_delay_alu instid0(VALU_DEP_2) | instskip(NEXT) | instid1(VALU_DEP_2)
	v_fma_f64 v[94:95], v[174:175], s[18:19], v[94:95]
	v_fma_f64 v[114:115], v[100:101], s[14:15], v[92:93]
	s_delay_alu instid0(VALU_DEP_2) | instskip(NEXT) | instid1(VALU_DEP_2)
	v_fma_f64 v[118:119], v[102:103], s[14:15], v[94:95]
	v_add_f64_e32 v[92:93], v[114:115], v[96:97]
	v_add_f64_e64 v[96:97], v[114:115], -v[96:97]
	v_fma_f64 v[114:115], v[144:145], s[20:21], v[168:169]
	s_delay_alu instid0(VALU_DEP_4) | instskip(SKIP_1) | instid1(VALU_DEP_3)
	v_add_f64_e32 v[94:95], v[118:119], v[98:99]
	v_add_f64_e64 v[98:99], v[118:119], -v[98:99]
	v_fma_f64 v[114:115], v[172:173], s[18:19], v[114:115]
	s_delay_alu instid0(VALU_DEP_1) | instskip(SKIP_1) | instid1(VALU_DEP_1)
	v_fma_f64 v[114:115], v[100:101], s[14:15], v[114:115]
	v_fma_f64 v[100:101], v[146:147], s[22:23], v[218:219]
	;; [unrolled: 1-line block ×3, first 2 shown]
	s_delay_alu instid0(VALU_DEP_1) | instskip(SKIP_2) | instid1(VALU_DEP_2)
	v_fma_f64 v[118:119], v[102:103], s[14:15], v[100:101]
	v_fma_f64 v[100:101], v[188:189], s[20:21], v[202:203]
	;; [unrolled: 1-line block ×4, first 2 shown]
	s_delay_alu instid0(VALU_DEP_2) | instskip(NEXT) | instid1(VALU_DEP_2)
	v_fma_f64 v[102:103], v[206:207], s[16:17], v[102:103]
	v_fma_f64 v[100:101], v[104:105], s[14:15], v[100:101]
	s_delay_alu instid0(VALU_DEP_2) | instskip(NEXT) | instid1(VALU_DEP_2)
	v_fma_f64 v[102:103], v[106:107], s[14:15], v[102:103]
	v_mul_f64_e32 v[104:105], s[26:27], v[100:101]
	s_delay_alu instid0(VALU_DEP_1) | instskip(SKIP_1) | instid1(VALU_DEP_1)
	v_fma_f64 v[104:105], v[102:103], s[20:21], v[104:105]
	v_mul_f64_e32 v[102:103], s[26:27], v[102:103]
	v_fma_f64 v[106:107], v[100:101], s[22:23], v[102:103]
	s_delay_alu instid0(VALU_DEP_3)
	v_add_f64_e32 v[100:101], v[114:115], v[104:105]
	v_add_f64_e64 v[104:105], v[114:115], -v[104:105]
	v_fma_f64 v[114:115], v[238:239], s[22:23], v[220:221]
	v_lshlrev_b32_e32 v238, 4, v0
	ds_store_b128 v238, v[9:12]
	ds_store_b128 v238, v[25:28] offset:16
	ds_store_b128 v238, v[52:55] offset:32
	;; [unrolled: 1-line block ×9, first 2 shown]
	v_add_co_u32 v9, null, 0x10e, v248
	s_delay_alu instid0(VALU_DEP_1) | instskip(NEXT) | instid1(VALU_DEP_1)
	v_mul_u32_u24_e32 v0, 10, v9
	v_lshlrev_b32_e32 v247, 4, v0
	v_and_b32_e32 v0, 0xff, v117
	s_delay_alu instid0(VALU_DEP_1) | instskip(SKIP_1) | instid1(VALU_DEP_2)
	v_mul_lo_u16 v1, 0xcd, v0
	v_mul_lo_u16 v0, v0, 41
	v_lshrrev_b16 v1, 11, v1
	s_delay_alu instid0(VALU_DEP_1)
	v_mul_lo_u16 v2, v1, 10
	v_and_b32_e32 v1, 0xffff, v1
	v_add_f64_e32 v[102:103], v[118:119], v[106:107]
	v_add_f64_e64 v[106:107], v[118:119], -v[106:107]
	v_fma_f64 v[118:119], v[172:173], s[22:23], v[160:161]
	v_fma_f64 v[114:115], v[188:189], s[18:19], v[114:115]
	v_sub_nc_u16 v2, v117, v2
	v_mul_u32_u24_e32 v1, 50, v1
	s_delay_alu instid0(VALU_DEP_2) | instskip(NEXT) | instid1(VALU_DEP_1)
	v_and_b32_e32 v2, 0xff, v2
	v_lshlrev_b32_e32 v7, 6, v2
	s_delay_alu instid0(VALU_DEP_3) | instskip(SKIP_4) | instid1(VALU_DEP_4)
	v_add_lshl_u32 v1, v1, v2, 4
	v_fma_f64 v[118:119], v[144:145], s[18:19], v[118:119]
	v_fma_f64 v[110:111], v[110:111], s[14:15], v[114:115]
	;; [unrolled: 1-line block ×5, first 2 shown]
	s_delay_alu instid0(VALU_DEP_4) | instskip(NEXT) | instid1(VALU_DEP_1)
	v_mul_f64_e32 v[112:113], s[28:29], v[110:111]
	v_fma_f64 v[112:113], v[108:109], s[16:17], v[112:113]
	v_mul_f64_e32 v[108:109], s[28:29], v[108:109]
	s_delay_alu instid0(VALU_DEP_1) | instskip(NEXT) | instid1(VALU_DEP_3)
	v_fma_f64 v[118:119], v[110:111], s[18:19], v[108:109]
	v_add_f64_e32 v[108:109], v[33:34], v[112:113]
	v_add_f64_e64 v[112:113], v[33:34], -v[112:113]
	s_delay_alu instid0(VALU_DEP_3)
	v_add_f64_e32 v[110:111], v[114:115], v[118:119]
	v_add_f64_e64 v[114:115], v[114:115], -v[118:119]
	ds_store_b128 v247, v[68:71]
	ds_store_b128 v247, v[84:87] offset:16
	ds_store_b128 v247, v[92:95] offset:32
	;; [unrolled: 1-line block ×9, first 2 shown]
	global_wb scope:SCOPE_SE
	s_wait_dscnt 0x0
	s_barrier_signal -1
	s_barrier_wait -1
	global_inv scope:SCOPE_SE
	global_load_b128 v[12:15], v7, s[10:11]
	ds_load_b128 v[3:6], v116 offset:12960
	v_add_co_u32 v95, s30, 0x195, v248
	v_add_co_u32 v94, null, 0x21c, v248
	v_add_co_u32 v93, null, 0x2a3, v248
	scratch_store_b32 off, v1, off offset:904 ; 4-byte Folded Spill
	s_wait_loadcnt_dscnt 0x0
	v_mul_f64_e32 v[10:11], v[5:6], v[14:15]
	scratch_store_b128 off, v[12:15], off offset:1228 ; 16-byte Folded Spill
	v_fma_f64 v[22:23], v[3:4], v[12:13], -v[10:11]
	v_mul_f64_e32 v[3:4], v[3:4], v[14:15]
	s_delay_alu instid0(VALU_DEP_1)
	v_fma_f64 v[24:25], v[5:6], v[12:13], v[3:4]
	global_load_b128 v[12:15], v7, s[10:11] offset:16
	ds_load_b128 v[3:6], v116 offset:25920
	s_wait_loadcnt_dscnt 0x0
	v_mul_f64_e32 v[10:11], v[5:6], v[14:15]
	scratch_store_b128 off, v[12:15], off offset:1244 ; 16-byte Folded Spill
	v_fma_f64 v[26:27], v[3:4], v[12:13], -v[10:11]
	v_mul_f64_e32 v[3:4], v[3:4], v[14:15]
	s_delay_alu instid0(VALU_DEP_1)
	v_fma_f64 v[28:29], v[5:6], v[12:13], v[3:4]
	global_load_b128 v[12:15], v7, s[10:11] offset:32
	ds_load_b128 v[3:6], v116 offset:38880
	s_wait_loadcnt_dscnt 0x0
	v_mul_f64_e32 v[10:11], v[5:6], v[14:15]
	scratch_store_b128 off, v[12:15], off offset:1260 ; 16-byte Folded Spill
	v_fma_f64 v[30:31], v[3:4], v[12:13], -v[10:11]
	v_mul_f64_e32 v[3:4], v[3:4], v[14:15]
	s_delay_alu instid0(VALU_DEP_2) | instskip(NEXT) | instid1(VALU_DEP_2)
	v_add_f64_e64 v[78:79], v[26:27], -v[30:31]
	v_fma_f64 v[32:33], v[5:6], v[12:13], v[3:4]
	global_load_b128 v[12:15], v7, s[10:11] offset:48
	ds_load_b128 v[3:6], v116 offset:51840
	v_add_f64_e64 v[58:59], v[28:29], -v[32:33]
	s_wait_loadcnt_dscnt 0x0
	v_mul_f64_e32 v[10:11], v[5:6], v[14:15]
	s_delay_alu instid0(VALU_DEP_1) | instskip(SKIP_1) | instid1(VALU_DEP_2)
	v_fma_f64 v[34:35], v[3:4], v[12:13], -v[10:11]
	v_mul_f64_e32 v[3:4], v[3:4], v[14:15]
	v_add_f64_e64 v[60:61], v[22:23], -v[34:35]
	s_delay_alu instid0(VALU_DEP_2) | instskip(SKIP_1) | instid1(VALU_DEP_1)
	v_fma_f64 v[5:6], v[5:6], v[12:13], v[3:4]
	v_and_b32_e32 v3, 0xffff, v8
	v_mul_u32_u24_e32 v3, 0xcccd, v3
	s_delay_alu instid0(VALU_DEP_1) | instskip(NEXT) | instid1(VALU_DEP_1)
	v_lshrrev_b32_e32 v3, 19, v3
	v_mul_lo_u16 v4, v3, 10
	s_delay_alu instid0(VALU_DEP_1) | instskip(NEXT) | instid1(VALU_DEP_1)
	v_sub_nc_u16 v4, v8, v4
	v_lshlrev_b16 v7, 2, v4
	s_delay_alu instid0(VALU_DEP_1) | instskip(NEXT) | instid1(VALU_DEP_1)
	v_and_b32_e32 v7, 0xffff, v7
	v_lshlrev_b32_e32 v7, 4, v7
	v_add_f64_e64 v[40:41], v[24:25], -v[5:6]
	global_load_b128 v[16:19], v7, s[10:11]
	scratch_store_b128 off, v[12:15], off offset:1276 ; 16-byte Folded Spill
	ds_load_b128 v[10:13], v116 offset:15120
	s_wait_loadcnt 0x0
	scratch_store_b128 off, v[16:19], off offset:1212 ; 16-byte Folded Spill
	s_wait_dscnt 0x0
	v_mul_f64_e32 v[14:15], v[12:13], v[18:19]
	s_delay_alu instid0(VALU_DEP_1) | instskip(SKIP_1) | instid1(VALU_DEP_1)
	v_fma_f64 v[42:43], v[10:11], v[16:17], -v[14:15]
	v_mul_f64_e32 v[10:11], v[10:11], v[18:19]
	v_fma_f64 v[44:45], v[12:13], v[16:17], v[10:11]
	global_load_b128 v[16:19], v7, s[10:11] offset:16
	ds_load_b128 v[10:13], v116 offset:28080
	s_wait_loadcnt_dscnt 0x0
	v_mul_f64_e32 v[14:15], v[12:13], v[18:19]
	scratch_store_b128 off, v[16:19], off offset:1196 ; 16-byte Folded Spill
	v_fma_f64 v[46:47], v[10:11], v[16:17], -v[14:15]
	v_mul_f64_e32 v[10:11], v[10:11], v[18:19]
	s_delay_alu instid0(VALU_DEP_1)
	v_fma_f64 v[48:49], v[12:13], v[16:17], v[10:11]
	global_load_b128 v[16:19], v7, s[10:11] offset:32
	ds_load_b128 v[10:13], v116 offset:41040
	s_wait_loadcnt_dscnt 0x0
	v_mul_f64_e32 v[14:15], v[12:13], v[18:19]
	scratch_store_b128 off, v[16:19], off offset:1180 ; 16-byte Folded Spill
	v_fma_f64 v[50:51], v[10:11], v[16:17], -v[14:15]
	v_mul_f64_e32 v[10:11], v[10:11], v[18:19]
	s_delay_alu instid0(VALU_DEP_2) | instskip(NEXT) | instid1(VALU_DEP_2)
	v_add_f64_e64 v[102:103], v[46:47], -v[50:51]
	v_fma_f64 v[52:53], v[12:13], v[16:17], v[10:11]
	global_load_b128 v[16:19], v7, s[10:11] offset:48
	ds_load_b128 v[10:13], v116 offset:54000
	v_and_b32_e32 v7, 0xffff, v9
	s_delay_alu instid0(VALU_DEP_1) | instskip(NEXT) | instid1(VALU_DEP_1)
	v_mul_u32_u24_e32 v7, 0xcccd, v7
	v_lshrrev_b32_e32 v7, 19, v7
	s_wait_loadcnt_dscnt 0x0
	v_mul_f64_e32 v[14:15], v[12:13], v[18:19]
	scratch_store_b128 off, v[16:19], off offset:1100 ; 16-byte Folded Spill
	v_fma_f64 v[54:55], v[10:11], v[16:17], -v[14:15]
	v_mul_f64_e32 v[10:11], v[10:11], v[18:19]
	s_delay_alu instid0(VALU_DEP_2) | instskip(NEXT) | instid1(VALU_DEP_2)
	v_add_f64_e64 v[80:81], v[42:43], -v[54:55]
	v_fma_f64 v[56:57], v[12:13], v[16:17], v[10:11]
	v_mul_lo_u16 v10, v7, 10
	s_delay_alu instid0(VALU_DEP_1) | instskip(NEXT) | instid1(VALU_DEP_1)
	v_sub_nc_u16 v92, v9, v10
	v_lshlrev_b16 v10, 2, v92
	s_delay_alu instid0(VALU_DEP_1) | instskip(NEXT) | instid1(VALU_DEP_1)
	v_and_b32_e32 v10, 0xffff, v10
	v_lshlrev_b32_e32 v16, 4, v10
	ds_load_b128 v[10:13], v116 offset:17280
	global_load_b128 v[17:20], v16, s[10:11]
	s_wait_loadcnt_dscnt 0x0
	v_mul_f64_e32 v[14:15], v[12:13], v[19:20]
	scratch_store_b128 off, v[17:20], off offset:1116 ; 16-byte Folded Spill
	v_fma_f64 v[62:63], v[10:11], v[17:18], -v[14:15]
	v_mul_f64_e32 v[10:11], v[10:11], v[19:20]
	s_delay_alu instid0(VALU_DEP_1)
	v_fma_f64 v[64:65], v[12:13], v[17:18], v[10:11]
	global_load_b128 v[17:20], v16, s[10:11] offset:16
	ds_load_b128 v[10:13], v116 offset:30240
	s_wait_loadcnt_dscnt 0x0
	v_mul_f64_e32 v[14:15], v[12:13], v[19:20]
	scratch_store_b128 off, v[17:20], off offset:1132 ; 16-byte Folded Spill
	v_fma_f64 v[66:67], v[10:11], v[17:18], -v[14:15]
	v_mul_f64_e32 v[10:11], v[10:11], v[19:20]
	s_delay_alu instid0(VALU_DEP_1)
	v_fma_f64 v[68:69], v[12:13], v[17:18], v[10:11]
	global_load_b128 v[17:20], v16, s[10:11] offset:32
	ds_load_b128 v[10:13], v116 offset:43200
	s_wait_loadcnt_dscnt 0x0
	v_mul_f64_e32 v[14:15], v[12:13], v[19:20]
	scratch_store_b128 off, v[17:20], off offset:1148 ; 16-byte Folded Spill
	v_fma_f64 v[70:71], v[10:11], v[17:18], -v[14:15]
	v_mul_f64_e32 v[10:11], v[10:11], v[19:20]
	s_delay_alu instid0(VALU_DEP_2) | instskip(NEXT) | instid1(VALU_DEP_2)
	v_add_f64_e64 v[106:107], v[66:67], -v[70:71]
	v_fma_f64 v[72:73], v[12:13], v[17:18], v[10:11]
	global_load_b128 v[16:19], v16, s[10:11] offset:48
	ds_load_b128 v[10:13], v116 offset:56160
	s_wait_loadcnt_dscnt 0x0
	v_mul_f64_e32 v[14:15], v[12:13], v[18:19]
	scratch_store_b128 off, v[16:19], off offset:1164 ; 16-byte Folded Spill
	v_fma_f64 v[74:75], v[10:11], v[16:17], -v[14:15]
	v_mul_f64_e32 v[10:11], v[10:11], v[18:19]
	s_delay_alu instid0(VALU_DEP_2) | instskip(NEXT) | instid1(VALU_DEP_2)
	v_add_f64_e64 v[104:105], v[62:63], -v[74:75]
	v_fma_f64 v[76:77], v[12:13], v[16:17], v[10:11]
	v_and_b32_e32 v10, 0xffff, v95
	s_delay_alu instid0(VALU_DEP_1) | instskip(NEXT) | instid1(VALU_DEP_1)
	v_mul_u32_u24_e32 v10, 0xcccd, v10
	v_lshrrev_b32_e32 v154, 19, v10
	s_delay_alu instid0(VALU_DEP_1) | instskip(NEXT) | instid1(VALU_DEP_1)
	v_mul_lo_u16 v10, v154, 10
	v_sub_nc_u16 v155, v95, v10
	s_delay_alu instid0(VALU_DEP_1) | instskip(NEXT) | instid1(VALU_DEP_1)
	v_lshlrev_b16 v10, 2, v155
	v_and_b32_e32 v10, 0xffff, v10
	s_delay_alu instid0(VALU_DEP_1)
	v_lshlrev_b32_e32 v16, 4, v10
	ds_load_b128 v[10:13], v116 offset:19440
	global_load_b128 v[17:20], v16, s[10:11]
	s_wait_loadcnt_dscnt 0x0
	v_mul_f64_e32 v[14:15], v[12:13], v[19:20]
	scratch_store_b128 off, v[17:20], off offset:1084 ; 16-byte Folded Spill
	v_fma_f64 v[82:83], v[10:11], v[17:18], -v[14:15]
	v_mul_f64_e32 v[10:11], v[10:11], v[19:20]
	s_delay_alu instid0(VALU_DEP_1)
	v_fma_f64 v[84:85], v[12:13], v[17:18], v[10:11]
	global_load_b128 v[17:20], v16, s[10:11] offset:16
	ds_load_b128 v[10:13], v116 offset:32400
	s_wait_loadcnt_dscnt 0x0
	v_mul_f64_e32 v[14:15], v[12:13], v[19:20]
	scratch_store_b128 off, v[17:20], off offset:1068 ; 16-byte Folded Spill
	v_fma_f64 v[86:87], v[10:11], v[17:18], -v[14:15]
	v_mul_f64_e32 v[10:11], v[10:11], v[19:20]
	s_delay_alu instid0(VALU_DEP_1)
	v_fma_f64 v[88:89], v[12:13], v[17:18], v[10:11]
	global_load_b128 v[17:20], v16, s[10:11] offset:32
	ds_load_b128 v[10:13], v116 offset:45360
	s_wait_loadcnt_dscnt 0x0
	v_mul_f64_e32 v[14:15], v[12:13], v[19:20]
	scratch_store_b128 off, v[17:20], off offset:1052 ; 16-byte Folded Spill
	v_fma_f64 v[90:91], v[10:11], v[17:18], -v[14:15]
	v_mul_f64_e32 v[10:11], v[10:11], v[19:20]
	s_delay_alu instid0(VALU_DEP_2) | instskip(NEXT) | instid1(VALU_DEP_2)
	v_add_f64_e64 v[128:129], v[86:87], -v[90:91]
	v_fma_f64 v[96:97], v[12:13], v[17:18], v[10:11]
	global_load_b128 v[16:19], v16, s[10:11] offset:48
	ds_load_b128 v[10:13], v116 offset:58320
	s_wait_loadcnt_dscnt 0x0
	v_mul_f64_e32 v[14:15], v[12:13], v[18:19]
	scratch_store_b128 off, v[16:19], off offset:972 ; 16-byte Folded Spill
	v_fma_f64 v[98:99], v[10:11], v[16:17], -v[14:15]
	v_mul_f64_e32 v[10:11], v[10:11], v[18:19]
	s_delay_alu instid0(VALU_DEP_2) | instskip(NEXT) | instid1(VALU_DEP_2)
	v_add_f64_e64 v[126:127], v[82:83], -v[98:99]
	v_fma_f64 v[100:101], v[12:13], v[16:17], v[10:11]
	v_and_b32_e32 v10, 0xffff, v94
	s_delay_alu instid0(VALU_DEP_1) | instskip(NEXT) | instid1(VALU_DEP_1)
	v_mul_u32_u24_e32 v10, 0xcccd, v10
	v_lshrrev_b32_e32 v156, 19, v10
	s_delay_alu instid0(VALU_DEP_1) | instskip(NEXT) | instid1(VALU_DEP_1)
	v_mul_lo_u16 v10, v156, 10
	v_sub_nc_u16 v157, v94, v10
	s_delay_alu instid0(VALU_DEP_1) | instskip(NEXT) | instid1(VALU_DEP_1)
	v_lshlrev_b16 v10, 2, v157
	v_and_b32_e32 v10, 0xffff, v10
	s_delay_alu instid0(VALU_DEP_1)
	;; [unrolled: 50-line block ×3, first 2 shown]
	v_lshlrev_b32_e32 v16, 4, v10
	ds_load_b128 v[10:13], v116 offset:23760
	global_load_b128 v[17:20], v16, s[10:11]
	s_wait_loadcnt_dscnt 0x0
	v_mul_f64_e32 v[14:15], v[12:13], v[19:20]
	scratch_store_b128 off, v[17:20], off offset:956 ; 16-byte Folded Spill
	v_fma_f64 v[130:131], v[10:11], v[17:18], -v[14:15]
	v_mul_f64_e32 v[10:11], v[10:11], v[19:20]
	s_delay_alu instid0(VALU_DEP_1)
	v_fma_f64 v[132:133], v[12:13], v[17:18], v[10:11]
	global_load_b128 v[17:20], v16, s[10:11] offset:16
	ds_load_b128 v[10:13], v116 offset:36720
	s_wait_loadcnt_dscnt 0x0
	v_mul_f64_e32 v[14:15], v[12:13], v[19:20]
	scratch_store_b128 off, v[17:20], off offset:940 ; 16-byte Folded Spill
	v_fma_f64 v[134:135], v[10:11], v[17:18], -v[14:15]
	v_mul_f64_e32 v[10:11], v[10:11], v[19:20]
	s_delay_alu instid0(VALU_DEP_1)
	v_fma_f64 v[136:137], v[12:13], v[17:18], v[10:11]
	global_load_b128 v[17:20], v16, s[10:11] offset:32
	ds_load_b128 v[10:13], v116 offset:49680
	s_wait_loadcnt_dscnt 0x0
	v_mul_f64_e32 v[14:15], v[12:13], v[19:20]
	scratch_store_b128 off, v[17:20], off offset:924 ; 16-byte Folded Spill
	v_fma_f64 v[138:139], v[10:11], v[17:18], -v[14:15]
	v_mul_f64_e32 v[10:11], v[10:11], v[19:20]
	s_delay_alu instid0(VALU_DEP_2) | instskip(NEXT) | instid1(VALU_DEP_2)
	v_add_f64_e64 v[152:153], v[134:135], -v[138:139]
	v_fma_f64 v[140:141], v[12:13], v[17:18], v[10:11]
	global_load_b128 v[16:19], v16, s[10:11] offset:48
	ds_load_b128 v[10:13], v116 offset:62640
	s_wait_loadcnt_dscnt 0x0
	v_mul_f64_e32 v[14:15], v[12:13], v[18:19]
	scratch_store_b128 off, v[16:19], off offset:908 ; 16-byte Folded Spill
	v_fma_f64 v[142:143], v[10:11], v[16:17], -v[14:15]
	v_mul_f64_e32 v[10:11], v[10:11], v[18:19]
	v_add_f64_e32 v[14:15], v[26:27], v[30:31]
	s_delay_alu instid0(VALU_DEP_3) | instskip(NEXT) | instid1(VALU_DEP_3)
	v_add_f64_e64 v[150:151], v[130:131], -v[142:143]
	v_fma_f64 v[144:145], v[12:13], v[16:17], v[10:11]
	v_add_f64_e64 v[10:11], v[22:23], -v[26:27]
	v_add_f64_e64 v[12:13], v[34:35], -v[30:31]
	s_delay_alu instid0(VALU_DEP_1) | instskip(SKIP_2) | instid1(VALU_DEP_1)
	v_add_f64_e32 v[18:19], v[10:11], v[12:13]
	v_add_f64_e64 v[10:11], v[24:25], -v[28:29]
	v_add_f64_e64 v[12:13], v[5:6], -v[32:33]
	v_add_f64_e32 v[20:21], v[10:11], v[12:13]
	ds_load_b128 v[10:13], v116
	s_wait_dscnt 0x0
	v_fma_f64 v[36:37], v[14:15], -0.5, v[10:11]
	v_add_f64_e32 v[14:15], v[28:29], v[32:33]
	s_delay_alu instid0(VALU_DEP_1) | instskip(NEXT) | instid1(VALU_DEP_3)
	v_fma_f64 v[38:39], v[14:15], -0.5, v[12:13]
	v_fma_f64 v[14:15], v[40:41], s[20:21], v[36:37]
	v_fma_f64 v[36:37], v[40:41], s[22:23], v[36:37]
	s_delay_alu instid0(VALU_DEP_3) | instskip(SKIP_1) | instid1(VALU_DEP_4)
	v_fma_f64 v[16:17], v[60:61], s[22:23], v[38:39]
	v_fma_f64 v[38:39], v[60:61], s[20:21], v[38:39]
	;; [unrolled: 1-line block ×3, first 2 shown]
	s_delay_alu instid0(VALU_DEP_4) | instskip(NEXT) | instid1(VALU_DEP_4)
	v_fma_f64 v[36:37], v[58:59], s[18:19], v[36:37]
	v_fma_f64 v[16:17], v[78:79], s[18:19], v[16:17]
	s_delay_alu instid0(VALU_DEP_4) | instskip(NEXT) | instid1(VALU_DEP_4)
	v_fma_f64 v[38:39], v[78:79], s[16:17], v[38:39]
	v_fma_f64 v[14:15], v[18:19], s[14:15], v[14:15]
	s_delay_alu instid0(VALU_DEP_4) | instskip(SKIP_4) | instid1(VALU_DEP_4)
	v_fma_f64 v[18:19], v[18:19], s[14:15], v[36:37]
	v_add_f64_e32 v[36:37], v[22:23], v[34:35]
	v_fma_f64 v[16:17], v[20:21], s[14:15], v[16:17]
	v_fma_f64 v[20:21], v[20:21], s[14:15], v[38:39]
	v_add_f64_e32 v[38:39], v[24:25], v[5:6]
	v_fma_f64 v[36:37], v[36:37], -0.5, v[10:11]
	v_add_f64_e32 v[10:11], v[10:11], v[22:23]
	v_add_f64_e64 v[22:23], v[26:27], -v[22:23]
	s_delay_alu instid0(VALU_DEP_4) | instskip(SKIP_4) | instid1(VALU_DEP_4)
	v_fma_f64 v[38:39], v[38:39], -0.5, v[12:13]
	v_add_f64_e32 v[12:13], v[12:13], v[24:25]
	v_add_f64_e64 v[24:25], v[28:29], -v[24:25]
	v_add_f64_e32 v[10:11], v[10:11], v[26:27]
	v_add_f64_e64 v[26:27], v[30:31], -v[34:35]
	v_add_f64_e32 v[12:13], v[12:13], v[28:29]
	v_fma_f64 v[28:29], v[58:59], s[22:23], v[36:37]
	s_delay_alu instid0(VALU_DEP_4)
	v_add_f64_e32 v[10:11], v[10:11], v[30:31]
	v_fma_f64 v[30:31], v[58:59], s[20:21], v[36:37]
	v_add_f64_e32 v[26:27], v[22:23], v[26:27]
	v_add_f64_e32 v[12:13], v[12:13], v[32:33]
	v_fma_f64 v[22:23], v[40:41], s[16:17], v[28:29]
	v_add_f64_e32 v[10:11], v[10:11], v[34:35]
	v_fma_f64 v[34:35], v[78:79], s[22:23], v[38:39]
	v_fma_f64 v[28:29], v[40:41], s[18:19], v[30:31]
	v_add_f64_e32 v[12:13], v[12:13], v[5:6]
	v_add_f64_e64 v[5:6], v[32:33], -v[5:6]
	v_fma_f64 v[32:33], v[78:79], s[20:21], v[38:39]
	v_fma_f64 v[30:31], v[60:61], s[16:17], v[34:35]
	;; [unrolled: 1-line block ×4, first 2 shown]
	v_add_f64_e32 v[34:35], v[46:47], v[50:51]
	v_add_f64_e64 v[78:79], v[48:49], -v[52:53]
	v_add_f64_e32 v[5:6], v[24:25], v[5:6]
	v_fma_f64 v[24:25], v[60:61], s[18:19], v[32:33]
	v_add_f64_e64 v[32:33], v[56:57], -v[52:53]
	v_add_f64_e64 v[60:61], v[44:45], -v[56:57]
	s_delay_alu instid0(VALU_DEP_4) | instskip(NEXT) | instid1(VALU_DEP_4)
	v_fma_f64 v[28:29], v[5:6], s[14:15], v[30:31]
	v_fma_f64 v[24:25], v[5:6], s[14:15], v[24:25]
	v_add_f64_e64 v[5:6], v[42:43], -v[46:47]
	v_add_f64_e64 v[30:31], v[54:55], -v[50:51]
	s_delay_alu instid0(VALU_DEP_1) | instskip(SKIP_1) | instid1(VALU_DEP_1)
	v_add_f64_e32 v[5:6], v[5:6], v[30:31]
	v_add_f64_e64 v[30:31], v[44:45], -v[48:49]
	v_add_f64_e32 v[40:41], v[30:31], v[32:33]
	ds_load_b128 v[30:33], v116 offset:2160
	s_wait_dscnt 0x0
	v_fma_f64 v[38:39], v[34:35], -0.5, v[30:31]
	v_add_f64_e32 v[34:35], v[48:49], v[52:53]
	s_delay_alu instid0(VALU_DEP_1) | instskip(NEXT) | instid1(VALU_DEP_3)
	v_fma_f64 v[58:59], v[34:35], -0.5, v[32:33]
	v_fma_f64 v[34:35], v[60:61], s[20:21], v[38:39]
	v_fma_f64 v[38:39], v[60:61], s[22:23], v[38:39]
	s_delay_alu instid0(VALU_DEP_3) | instskip(NEXT) | instid1(VALU_DEP_3)
	v_fma_f64 v[36:37], v[80:81], s[22:23], v[58:59]
	v_fma_f64 v[34:35], v[78:79], s[16:17], v[34:35]
	;; [unrolled: 1-line block ×3, first 2 shown]
	s_delay_alu instid0(VALU_DEP_4) | instskip(NEXT) | instid1(VALU_DEP_4)
	v_fma_f64 v[38:39], v[78:79], s[18:19], v[38:39]
	v_fma_f64 v[36:37], v[102:103], s[18:19], v[36:37]
	s_delay_alu instid0(VALU_DEP_4) | instskip(NEXT) | instid1(VALU_DEP_4)
	v_fma_f64 v[34:35], v[5:6], s[14:15], v[34:35]
	v_fma_f64 v[58:59], v[102:103], s[16:17], v[58:59]
	s_delay_alu instid0(VALU_DEP_4) | instskip(SKIP_2) | instid1(VALU_DEP_4)
	v_fma_f64 v[38:39], v[5:6], s[14:15], v[38:39]
	v_add_f64_e32 v[5:6], v[42:43], v[54:55]
	v_fma_f64 v[36:37], v[40:41], s[14:15], v[36:37]
	v_fma_f64 v[40:41], v[40:41], s[14:15], v[58:59]
	v_add_f64_e32 v[58:59], v[44:45], v[56:57]
	s_delay_alu instid0(VALU_DEP_4) | instskip(SKIP_2) | instid1(VALU_DEP_4)
	v_fma_f64 v[5:6], v[5:6], -0.5, v[30:31]
	v_add_f64_e32 v[30:31], v[30:31], v[42:43]
	v_add_f64_e64 v[42:43], v[46:47], -v[42:43]
	v_fma_f64 v[58:59], v[58:59], -0.5, v[32:33]
	v_add_f64_e32 v[32:33], v[32:33], v[44:45]
	s_delay_alu instid0(VALU_DEP_4) | instskip(SKIP_2) | instid1(VALU_DEP_4)
	v_add_f64_e32 v[30:31], v[30:31], v[46:47]
	v_add_f64_e64 v[44:45], v[48:49], -v[44:45]
	v_add_f64_e64 v[46:47], v[50:51], -v[54:55]
	v_add_f64_e32 v[32:33], v[32:33], v[48:49]
	s_delay_alu instid0(VALU_DEP_4)
	v_add_f64_e32 v[30:31], v[30:31], v[50:51]
	v_add_f64_e64 v[48:49], v[52:53], -v[56:57]
	v_fma_f64 v[50:51], v[78:79], s[22:23], v[5:6]
	v_fma_f64 v[5:6], v[78:79], s[20:21], v[5:6]
	v_add_f64_e32 v[46:47], v[42:43], v[46:47]
	v_add_f64_e32 v[32:33], v[32:33], v[52:53]
	;; [unrolled: 1-line block ×3, first 2 shown]
	v_fma_f64 v[52:53], v[102:103], s[20:21], v[58:59]
	v_fma_f64 v[54:55], v[102:103], s[22:23], v[58:59]
	v_add_f64_e32 v[48:49], v[44:45], v[48:49]
	v_fma_f64 v[42:43], v[60:61], s[16:17], v[50:51]
	v_fma_f64 v[5:6], v[60:61], s[18:19], v[5:6]
	v_add_f64_e64 v[102:103], v[68:69], -v[72:73]
	v_add_f64_e32 v[32:33], v[32:33], v[56:57]
	v_fma_f64 v[44:45], v[80:81], s[18:19], v[52:53]
	v_fma_f64 v[50:51], v[80:81], s[16:17], v[54:55]
	v_add_f64_e64 v[52:53], v[76:77], -v[72:73]
	v_fma_f64 v[42:43], v[46:47], s[14:15], v[42:43]
	v_fma_f64 v[46:47], v[46:47], s[14:15], v[5:6]
	v_add_f64_e64 v[5:6], v[62:63], -v[66:67]
	v_add_f64_e32 v[54:55], v[66:67], v[70:71]
	v_add_f64_e64 v[80:81], v[64:65], -v[76:77]
	v_fma_f64 v[44:45], v[48:49], s[14:15], v[44:45]
	v_fma_f64 v[48:49], v[48:49], s[14:15], v[50:51]
	v_add_f64_e64 v[50:51], v[74:75], -v[70:71]
	s_delay_alu instid0(VALU_DEP_1) | instskip(SKIP_1) | instid1(VALU_DEP_1)
	v_add_f64_e32 v[5:6], v[5:6], v[50:51]
	v_add_f64_e64 v[50:51], v[64:65], -v[68:69]
	v_add_f64_e32 v[60:61], v[50:51], v[52:53]
	ds_load_b128 v[50:53], v116 offset:4320
	s_wait_dscnt 0x0
	v_fma_f64 v[58:59], v[54:55], -0.5, v[50:51]
	v_add_f64_e32 v[54:55], v[68:69], v[72:73]
	s_delay_alu instid0(VALU_DEP_1) | instskip(NEXT) | instid1(VALU_DEP_3)
	v_fma_f64 v[78:79], v[54:55], -0.5, v[52:53]
	v_fma_f64 v[54:55], v[80:81], s[20:21], v[58:59]
	v_fma_f64 v[58:59], v[80:81], s[22:23], v[58:59]
	s_delay_alu instid0(VALU_DEP_3) | instskip(NEXT) | instid1(VALU_DEP_3)
	v_fma_f64 v[56:57], v[104:105], s[22:23], v[78:79]
	v_fma_f64 v[54:55], v[102:103], s[16:17], v[54:55]
	;; [unrolled: 1-line block ×3, first 2 shown]
	s_delay_alu instid0(VALU_DEP_4) | instskip(NEXT) | instid1(VALU_DEP_4)
	v_fma_f64 v[58:59], v[102:103], s[18:19], v[58:59]
	v_fma_f64 v[56:57], v[106:107], s[18:19], v[56:57]
	s_delay_alu instid0(VALU_DEP_4) | instskip(NEXT) | instid1(VALU_DEP_4)
	v_fma_f64 v[54:55], v[5:6], s[14:15], v[54:55]
	v_fma_f64 v[78:79], v[106:107], s[16:17], v[78:79]
	s_delay_alu instid0(VALU_DEP_4) | instskip(SKIP_2) | instid1(VALU_DEP_4)
	v_fma_f64 v[58:59], v[5:6], s[14:15], v[58:59]
	v_add_f64_e32 v[5:6], v[62:63], v[74:75]
	v_fma_f64 v[56:57], v[60:61], s[14:15], v[56:57]
	v_fma_f64 v[60:61], v[60:61], s[14:15], v[78:79]
	v_add_f64_e32 v[78:79], v[64:65], v[76:77]
	s_delay_alu instid0(VALU_DEP_4) | instskip(SKIP_2) | instid1(VALU_DEP_4)
	v_fma_f64 v[5:6], v[5:6], -0.5, v[50:51]
	v_add_f64_e32 v[50:51], v[50:51], v[62:63]
	v_add_f64_e64 v[62:63], v[66:67], -v[62:63]
	v_fma_f64 v[78:79], v[78:79], -0.5, v[52:53]
	v_add_f64_e32 v[52:53], v[52:53], v[64:65]
	s_delay_alu instid0(VALU_DEP_4) | instskip(SKIP_2) | instid1(VALU_DEP_4)
	v_add_f64_e32 v[50:51], v[50:51], v[66:67]
	v_add_f64_e64 v[64:65], v[68:69], -v[64:65]
	v_add_f64_e64 v[66:67], v[70:71], -v[74:75]
	v_add_f64_e32 v[52:53], v[52:53], v[68:69]
	s_delay_alu instid0(VALU_DEP_4)
	v_add_f64_e32 v[50:51], v[50:51], v[70:71]
	v_add_f64_e64 v[68:69], v[72:73], -v[76:77]
	v_fma_f64 v[70:71], v[102:103], s[22:23], v[5:6]
	v_fma_f64 v[5:6], v[102:103], s[20:21], v[5:6]
	v_add_f64_e32 v[66:67], v[62:63], v[66:67]
	v_add_f64_e32 v[52:53], v[52:53], v[72:73]
	;; [unrolled: 1-line block ×3, first 2 shown]
	v_fma_f64 v[72:73], v[106:107], s[20:21], v[78:79]
	v_fma_f64 v[74:75], v[106:107], s[22:23], v[78:79]
	v_add_f64_e32 v[68:69], v[64:65], v[68:69]
	v_fma_f64 v[62:63], v[80:81], s[16:17], v[70:71]
	v_fma_f64 v[5:6], v[80:81], s[18:19], v[5:6]
	v_add_f64_e64 v[106:107], v[88:89], -v[96:97]
	v_add_f64_e32 v[52:53], v[52:53], v[76:77]
	v_fma_f64 v[64:65], v[104:105], s[18:19], v[72:73]
	v_fma_f64 v[70:71], v[104:105], s[16:17], v[74:75]
	v_add_f64_e64 v[72:73], v[100:101], -v[96:97]
	v_fma_f64 v[62:63], v[66:67], s[14:15], v[62:63]
	v_fma_f64 v[66:67], v[66:67], s[14:15], v[5:6]
	v_add_f64_e64 v[5:6], v[82:83], -v[86:87]
	v_add_f64_e32 v[74:75], v[86:87], v[90:91]
	v_add_f64_e64 v[104:105], v[84:85], -v[100:101]
	v_fma_f64 v[64:65], v[68:69], s[14:15], v[64:65]
	v_fma_f64 v[68:69], v[68:69], s[14:15], v[70:71]
	v_add_f64_e64 v[70:71], v[98:99], -v[90:91]
	s_delay_alu instid0(VALU_DEP_1) | instskip(SKIP_1) | instid1(VALU_DEP_1)
	v_add_f64_e32 v[5:6], v[5:6], v[70:71]
	v_add_f64_e64 v[70:71], v[84:85], -v[88:89]
	v_add_f64_e32 v[80:81], v[70:71], v[72:73]
	ds_load_b128 v[70:73], v116 offset:6480
	s_wait_dscnt 0x0
	v_fma_f64 v[78:79], v[74:75], -0.5, v[70:71]
	v_add_f64_e32 v[74:75], v[88:89], v[96:97]
	s_delay_alu instid0(VALU_DEP_1) | instskip(NEXT) | instid1(VALU_DEP_3)
	v_fma_f64 v[102:103], v[74:75], -0.5, v[72:73]
	v_fma_f64 v[74:75], v[104:105], s[20:21], v[78:79]
	v_fma_f64 v[78:79], v[104:105], s[22:23], v[78:79]
	s_delay_alu instid0(VALU_DEP_3) | instskip(NEXT) | instid1(VALU_DEP_3)
	v_fma_f64 v[76:77], v[126:127], s[22:23], v[102:103]
	v_fma_f64 v[74:75], v[106:107], s[16:17], v[74:75]
	;; [unrolled: 1-line block ×3, first 2 shown]
	s_delay_alu instid0(VALU_DEP_4) | instskip(NEXT) | instid1(VALU_DEP_4)
	v_fma_f64 v[78:79], v[106:107], s[18:19], v[78:79]
	v_fma_f64 v[76:77], v[128:129], s[18:19], v[76:77]
	s_delay_alu instid0(VALU_DEP_4) | instskip(NEXT) | instid1(VALU_DEP_4)
	v_fma_f64 v[74:75], v[5:6], s[14:15], v[74:75]
	v_fma_f64 v[102:103], v[128:129], s[16:17], v[102:103]
	s_delay_alu instid0(VALU_DEP_4) | instskip(SKIP_2) | instid1(VALU_DEP_4)
	v_fma_f64 v[78:79], v[5:6], s[14:15], v[78:79]
	v_add_f64_e32 v[5:6], v[82:83], v[98:99]
	v_fma_f64 v[76:77], v[80:81], s[14:15], v[76:77]
	v_fma_f64 v[80:81], v[80:81], s[14:15], v[102:103]
	v_add_f64_e32 v[102:103], v[84:85], v[100:101]
	s_delay_alu instid0(VALU_DEP_4) | instskip(SKIP_2) | instid1(VALU_DEP_4)
	v_fma_f64 v[5:6], v[5:6], -0.5, v[70:71]
	v_add_f64_e32 v[70:71], v[70:71], v[82:83]
	v_add_f64_e64 v[82:83], v[86:87], -v[82:83]
	v_fma_f64 v[102:103], v[102:103], -0.5, v[72:73]
	v_add_f64_e32 v[72:73], v[72:73], v[84:85]
	s_delay_alu instid0(VALU_DEP_4) | instskip(SKIP_2) | instid1(VALU_DEP_4)
	v_add_f64_e32 v[70:71], v[70:71], v[86:87]
	v_add_f64_e64 v[84:85], v[88:89], -v[84:85]
	v_add_f64_e64 v[86:87], v[90:91], -v[98:99]
	v_add_f64_e32 v[72:73], v[72:73], v[88:89]
	s_delay_alu instid0(VALU_DEP_4)
	v_add_f64_e32 v[70:71], v[70:71], v[90:91]
	v_add_f64_e64 v[88:89], v[96:97], -v[100:101]
	v_fma_f64 v[90:91], v[106:107], s[22:23], v[5:6]
	v_fma_f64 v[5:6], v[106:107], s[20:21], v[5:6]
	v_add_f64_e32 v[86:87], v[82:83], v[86:87]
	v_add_f64_e32 v[72:73], v[72:73], v[96:97]
	;; [unrolled: 1-line block ×3, first 2 shown]
	v_fma_f64 v[96:97], v[128:129], s[20:21], v[102:103]
	v_fma_f64 v[98:99], v[128:129], s[22:23], v[102:103]
	v_add_f64_e32 v[88:89], v[84:85], v[88:89]
	v_fma_f64 v[82:83], v[104:105], s[16:17], v[90:91]
	v_fma_f64 v[5:6], v[104:105], s[18:19], v[5:6]
	v_add_f64_e64 v[128:129], v[114:115], -v[120:121]
	v_add_f64_e32 v[72:73], v[72:73], v[100:101]
	v_add_f64_e32 v[100:101], v[112:113], v[118:119]
	v_fma_f64 v[84:85], v[126:127], s[18:19], v[96:97]
	v_fma_f64 v[90:91], v[126:127], s[16:17], v[98:99]
	v_add_f64_e64 v[96:97], v[124:125], -v[120:121]
	v_fma_f64 v[82:83], v[86:87], s[14:15], v[82:83]
	v_fma_f64 v[86:87], v[86:87], s[14:15], v[5:6]
	v_add_f64_e64 v[5:6], v[108:109], -v[112:113]
	v_add_f64_e64 v[126:127], v[110:111], -v[124:125]
	v_fma_f64 v[84:85], v[88:89], s[14:15], v[84:85]
	v_fma_f64 v[88:89], v[88:89], s[14:15], v[90:91]
	v_add_f64_e64 v[90:91], v[122:123], -v[118:119]
	s_delay_alu instid0(VALU_DEP_1) | instskip(SKIP_1) | instid1(VALU_DEP_1)
	v_add_f64_e32 v[5:6], v[5:6], v[90:91]
	v_add_f64_e64 v[90:91], v[110:111], -v[114:115]
	v_add_f64_e32 v[90:91], v[90:91], v[96:97]
	ds_load_b128 v[96:99], v116 offset:8640
	s_wait_dscnt 0x0
	v_fma_f64 v[104:105], v[100:101], -0.5, v[96:97]
	v_add_f64_e32 v[100:101], v[114:115], v[120:121]
	s_delay_alu instid0(VALU_DEP_1) | instskip(NEXT) | instid1(VALU_DEP_3)
	v_fma_f64 v[106:107], v[100:101], -0.5, v[98:99]
	v_fma_f64 v[100:101], v[126:127], s[20:21], v[104:105]
	v_fma_f64 v[104:105], v[126:127], s[22:23], v[104:105]
	s_delay_alu instid0(VALU_DEP_3) | instskip(SKIP_1) | instid1(VALU_DEP_4)
	v_fma_f64 v[102:103], v[146:147], s[22:23], v[106:107]
	v_fma_f64 v[106:107], v[146:147], s[20:21], v[106:107]
	;; [unrolled: 1-line block ×3, first 2 shown]
	s_delay_alu instid0(VALU_DEP_4) | instskip(NEXT) | instid1(VALU_DEP_4)
	v_fma_f64 v[104:105], v[128:129], s[18:19], v[104:105]
	v_fma_f64 v[102:103], v[148:149], s[18:19], v[102:103]
	s_delay_alu instid0(VALU_DEP_4) | instskip(NEXT) | instid1(VALU_DEP_4)
	v_fma_f64 v[106:107], v[148:149], s[16:17], v[106:107]
	v_fma_f64 v[100:101], v[5:6], s[14:15], v[100:101]
	s_delay_alu instid0(VALU_DEP_4) | instskip(SKIP_4) | instid1(VALU_DEP_4)
	v_fma_f64 v[104:105], v[5:6], s[14:15], v[104:105]
	v_add_f64_e32 v[5:6], v[108:109], v[122:123]
	v_fma_f64 v[102:103], v[90:91], s[14:15], v[102:103]
	v_fma_f64 v[106:107], v[90:91], s[14:15], v[106:107]
	v_add_f64_e32 v[90:91], v[110:111], v[124:125]
	v_fma_f64 v[5:6], v[5:6], -0.5, v[96:97]
	v_add_f64_e32 v[96:97], v[96:97], v[108:109]
	v_add_f64_e64 v[108:109], v[112:113], -v[108:109]
	s_delay_alu instid0(VALU_DEP_4) | instskip(SKIP_4) | instid1(VALU_DEP_4)
	v_fma_f64 v[90:91], v[90:91], -0.5, v[98:99]
	v_add_f64_e32 v[98:99], v[98:99], v[110:111]
	v_add_f64_e64 v[110:111], v[114:115], -v[110:111]
	v_add_f64_e32 v[96:97], v[96:97], v[112:113]
	v_add_f64_e64 v[112:113], v[118:119], -v[122:123]
	;; [unrolled: 2-line block ×3, first 2 shown]
	s_delay_alu instid0(VALU_DEP_4)
	v_add_f64_e32 v[96:97], v[96:97], v[118:119]
	v_fma_f64 v[118:119], v[128:129], s[22:23], v[5:6]
	v_fma_f64 v[5:6], v[128:129], s[20:21], v[5:6]
	v_add_f64_e32 v[112:113], v[108:109], v[112:113]
	v_add_f64_e32 v[98:99], v[98:99], v[120:121]
	v_fma_f64 v[120:121], v[148:149], s[20:21], v[90:91]
	v_fma_f64 v[90:91], v[148:149], s[22:23], v[90:91]
	v_add_f64_e32 v[114:115], v[110:111], v[114:115]
	v_fma_f64 v[108:109], v[126:127], s[16:17], v[118:119]
	v_fma_f64 v[5:6], v[126:127], s[18:19], v[5:6]
	v_add_f64_e64 v[118:119], v[144:145], -v[140:141]
	v_add_f64_e32 v[96:97], v[96:97], v[122:123]
	v_add_f64_e32 v[122:123], v[134:135], v[138:139]
	v_add_f64_e64 v[148:149], v[136:137], -v[140:141]
	v_add_f64_e32 v[98:99], v[98:99], v[124:125]
	v_fma_f64 v[110:111], v[146:147], s[18:19], v[120:121]
	v_fma_f64 v[90:91], v[146:147], s[16:17], v[90:91]
	v_add_f64_e64 v[146:147], v[132:133], -v[144:145]
	v_fma_f64 v[108:109], v[112:113], s[14:15], v[108:109]
	v_fma_f64 v[112:113], v[112:113], s[14:15], v[5:6]
	v_add_f64_e64 v[5:6], v[130:131], -v[134:135]
	;; [unrolled: 3-line block ×3, first 2 shown]
	s_delay_alu instid0(VALU_DEP_1) | instskip(SKIP_1) | instid1(VALU_DEP_1)
	v_add_f64_e32 v[5:6], v[5:6], v[90:91]
	v_add_f64_e64 v[90:91], v[132:133], -v[136:137]
	v_add_f64_e32 v[90:91], v[90:91], v[118:119]
	ds_load_b128 v[118:121], v116 offset:10800
	global_wb scope:SCOPE_SE
	s_wait_storecnt_dscnt 0x0
	s_barrier_signal -1
	s_barrier_wait -1
	global_inv scope:SCOPE_SE
	ds_store_b128 v1, v[10:13]
	ds_store_b128 v1, v[14:17] offset:160
	ds_store_b128 v1, v[22:25] offset:320
	;; [unrolled: 1-line block ×4, first 2 shown]
	v_mad_u16 v1, v3, 50, v4
	s_delay_alu instid0(VALU_DEP_1) | instskip(NEXT) | instid1(VALU_DEP_1)
	v_and_b32_e32 v1, 0xffff, v1
	v_lshlrev_b32_e32 v1, 4, v1
	v_fma_f64 v[126:127], v[122:123], -0.5, v[118:119]
	v_add_f64_e32 v[122:123], v[136:137], v[140:141]
	scratch_store_b32 off, v1, off offset:900 ; 4-byte Folded Spill
	ds_store_b128 v1, v[30:33]
	ds_store_b128 v1, v[34:37] offset:160
	ds_store_b128 v1, v[42:45] offset:320
	;; [unrolled: 1-line block ×4, first 2 shown]
	v_mad_u16 v1, v7, 50, v92
	v_lshrrev_b16 v92, 11, v0
	s_delay_alu instid0(VALU_DEP_2) | instskip(NEXT) | instid1(VALU_DEP_2)
	v_and_b32_e32 v1, 0xffff, v1
	v_mul_lo_u16 v0, v92, 50
	s_delay_alu instid0(VALU_DEP_2) | instskip(NEXT) | instid1(VALU_DEP_2)
	v_lshlrev_b32_e32 v1, 4, v1
	v_sub_nc_u16 v0, v117, v0
	scratch_store_b32 off, v1, off offset:896 ; 4-byte Folded Spill
	ds_store_b128 v1, v[50:53]
	ds_store_b128 v1, v[54:57] offset:160
	ds_store_b128 v1, v[62:65] offset:320
	;; [unrolled: 1-line block ×4, first 2 shown]
	v_mad_u16 v1, v154, 50, v155
	s_delay_alu instid0(VALU_DEP_1) | instskip(NEXT) | instid1(VALU_DEP_1)
	v_and_b32_e32 v1, 0xffff, v1
	v_lshlrev_b32_e32 v1, 4, v1
	scratch_store_b32 off, v1, off offset:892 ; 4-byte Folded Spill
	ds_store_b128 v1, v[70:73]
	ds_store_b128 v1, v[74:77] offset:160
	ds_store_b128 v1, v[82:85] offset:320
	;; [unrolled: 1-line block ×4, first 2 shown]
	v_mad_u16 v1, v156, 50, v157
	v_fma_f64 v[128:129], v[122:123], -0.5, v[120:121]
	v_fma_f64 v[122:123], v[146:147], s[20:21], v[126:127]
	v_fma_f64 v[126:127], v[146:147], s[22:23], v[126:127]
	s_delay_alu instid0(VALU_DEP_4) | instskip(NEXT) | instid1(VALU_DEP_1)
	v_and_b32_e32 v1, 0xffff, v1
	v_lshlrev_b32_e32 v1, 4, v1
	scratch_store_b32 off, v1, off offset:888 ; 4-byte Folded Spill
	ds_store_b128 v1, v[96:99]
	ds_store_b128 v1, v[100:103] offset:160
	ds_store_b128 v1, v[108:111] offset:320
	;; [unrolled: 1-line block ×4, first 2 shown]
	v_mad_u16 v1, v158, 50, v159
	v_add_co_u32 v99, null, 0x32a, v248
	v_add_co_u32 v98, null, 0x3b1, v248
	s_delay_alu instid0(VALU_DEP_3) | instskip(SKIP_2) | instid1(VALU_DEP_3)
	v_and_b32_e32 v1, 0xffff, v1
	v_add_co_u32 v97, null, 0x438, v248
	v_add_co_u32 v96, null, 0x4bf, v248
	v_lshlrev_b32_e32 v1, 4, v1
	scratch_store_b32 off, v1, off offset:884 ; 4-byte Folded Spill
	v_fma_f64 v[124:125], v[150:151], s[22:23], v[128:129]
	v_fma_f64 v[128:129], v[150:151], s[20:21], v[128:129]
	;; [unrolled: 1-line block ×4, first 2 shown]
	s_delay_alu instid0(VALU_DEP_4) | instskip(NEXT) | instid1(VALU_DEP_4)
	v_fma_f64 v[124:125], v[152:153], s[18:19], v[124:125]
	v_fma_f64 v[128:129], v[152:153], s[16:17], v[128:129]
	s_delay_alu instid0(VALU_DEP_4) | instskip(NEXT) | instid1(VALU_DEP_4)
	v_fma_f64 v[122:123], v[5:6], s[14:15], v[122:123]
	v_fma_f64 v[126:127], v[5:6], s[14:15], v[126:127]
	v_add_f64_e32 v[5:6], v[130:131], v[142:143]
	v_fma_f64 v[124:125], v[90:91], s[14:15], v[124:125]
	v_fma_f64 v[128:129], v[90:91], s[14:15], v[128:129]
	v_add_f64_e32 v[90:91], v[132:133], v[144:145]
	s_delay_alu instid0(VALU_DEP_4) | instskip(SKIP_2) | instid1(VALU_DEP_4)
	v_fma_f64 v[5:6], v[5:6], -0.5, v[118:119]
	v_add_f64_e32 v[118:119], v[118:119], v[130:131]
	v_add_f64_e64 v[130:131], v[134:135], -v[130:131]
	v_fma_f64 v[90:91], v[90:91], -0.5, v[120:121]
	v_add_f64_e32 v[120:121], v[120:121], v[132:133]
	v_add_f64_e64 v[132:133], v[136:137], -v[132:133]
	v_add_f64_e32 v[118:119], v[118:119], v[134:135]
	v_add_f64_e64 v[134:135], v[138:139], -v[142:143]
	s_delay_alu instid0(VALU_DEP_4) | instskip(SKIP_1) | instid1(VALU_DEP_4)
	v_add_f64_e32 v[120:121], v[120:121], v[136:137]
	v_add_f64_e64 v[136:137], v[140:141], -v[144:145]
	v_add_f64_e32 v[118:119], v[118:119], v[138:139]
	v_fma_f64 v[138:139], v[148:149], s[22:23], v[5:6]
	v_fma_f64 v[5:6], v[148:149], s[20:21], v[5:6]
	v_add_f64_e32 v[134:135], v[130:131], v[134:135]
	v_add_f64_e32 v[120:121], v[120:121], v[140:141]
	v_fma_f64 v[140:141], v[152:153], s[20:21], v[90:91]
	v_fma_f64 v[90:91], v[152:153], s[22:23], v[90:91]
	v_add_f64_e32 v[136:137], v[132:133], v[136:137]
	v_fma_f64 v[130:131], v[146:147], s[16:17], v[138:139]
	v_fma_f64 v[5:6], v[146:147], s[18:19], v[5:6]
	v_add_f64_e32 v[118:119], v[118:119], v[142:143]
	v_add_f64_e32 v[120:121], v[120:121], v[144:145]
	v_fma_f64 v[132:133], v[150:151], s[18:19], v[140:141]
	v_fma_f64 v[90:91], v[150:151], s[16:17], v[90:91]
	v_and_b32_e32 v144, 0xff, v0
	v_fma_f64 v[130:131], v[134:135], s[14:15], v[130:131]
	v_fma_f64 v[134:135], v[134:135], s[14:15], v[5:6]
	s_delay_alu instid0(VALU_DEP_3)
	v_lshlrev_b32_e32 v10, 5, v144
	v_fma_f64 v[132:133], v[136:137], s[14:15], v[132:133]
	v_fma_f64 v[136:137], v[136:137], s[14:15], v[90:91]
	ds_store_b128 v1, v[118:121]
	ds_store_b128 v1, v[122:125] offset:160
	ds_store_b128 v1, v[130:133] offset:320
	;; [unrolled: 1-line block ×4, first 2 shown]
	global_wb scope:SCOPE_SE
	s_wait_storecnt_dscnt 0x0
	s_barrier_signal -1
	s_barrier_wait -1
	global_inv scope:SCOPE_SE
	global_load_b128 v[11:14], v10, s[10:11] offset:640
	ds_load_b128 v[0:3], v116 offset:21600
	s_wait_loadcnt_dscnt 0x0
	v_mul_f64_e32 v[4:5], v[2:3], v[13:14]
	scratch_store_b128 off, v[11:14], off offset:852 ; 16-byte Folded Spill
	v_fma_f64 v[4:5], v[0:1], v[11:12], -v[4:5]
	v_mul_f64_e32 v[0:1], v[0:1], v[13:14]
	s_delay_alu instid0(VALU_DEP_1)
	v_fma_f64 v[6:7], v[2:3], v[11:12], v[0:1]
	global_load_b128 v[12:15], v10, s[10:11] offset:656
	ds_load_b128 v[0:3], v116 offset:43200
	s_wait_loadcnt_dscnt 0x0
	v_mul_f64_e32 v[10:11], v[2:3], v[14:15]
	scratch_store_b128 off, v[12:15], off offset:868 ; 16-byte Folded Spill
	v_fma_f64 v[18:19], v[0:1], v[12:13], -v[10:11]
	v_mul_f64_e32 v[0:1], v[0:1], v[14:15]
	s_delay_alu instid0(VALU_DEP_1) | instskip(SKIP_1) | instid1(VALU_DEP_1)
	v_fma_f64 v[20:21], v[2:3], v[12:13], v[0:1]
	v_lshrrev_b16 v0, 1, v8
	v_and_b32_e32 v0, 0xffff, v0
	s_delay_alu instid0(VALU_DEP_1) | instskip(NEXT) | instid1(VALU_DEP_1)
	v_mul_u32_u24_e32 v0, 0x147b, v0
	v_lshrrev_b32_e32 v145, 17, v0
	s_delay_alu instid0(VALU_DEP_1) | instskip(NEXT) | instid1(VALU_DEP_1)
	v_mul_lo_u16 v0, v145, 50
	v_sub_nc_u16 v146, v8, v0
	s_delay_alu instid0(VALU_DEP_1) | instskip(NEXT) | instid1(VALU_DEP_1)
	v_lshlrev_b16 v0, 5, v146
	v_and_b32_e32 v0, 0xffff, v0
	s_delay_alu instid0(VALU_DEP_1)
	v_add_co_u32 v10, s2, s10, v0
	s_wait_alu 0xf1ff
	v_add_co_ci_u32_e64 v11, null, s11, 0, s2
	ds_load_b128 v[0:3], v116 offset:23760
	global_load_b128 v[14:17], v[10:11], off offset:640
	s_wait_loadcnt_dscnt 0x0
	v_mul_f64_e32 v[12:13], v[2:3], v[16:17]
	scratch_store_b128 off, v[14:17], off offset:836 ; 16-byte Folded Spill
	v_fma_f64 v[26:27], v[0:1], v[14:15], -v[12:13]
	v_mul_f64_e32 v[0:1], v[0:1], v[16:17]
	s_delay_alu instid0(VALU_DEP_1)
	v_fma_f64 v[28:29], v[2:3], v[14:15], v[0:1]
	global_load_b128 v[12:15], v[10:11], off offset:656
	ds_load_b128 v[0:3], v116 offset:45360
	s_wait_loadcnt_dscnt 0x0
	v_mul_f64_e32 v[10:11], v[2:3], v[14:15]
	scratch_store_b128 off, v[12:15], off offset:676 ; 16-byte Folded Spill
	v_fma_f64 v[30:31], v[0:1], v[12:13], -v[10:11]
	v_mul_f64_e32 v[0:1], v[0:1], v[14:15]
	s_delay_alu instid0(VALU_DEP_1) | instskip(SKIP_1) | instid1(VALU_DEP_1)
	v_fma_f64 v[32:33], v[2:3], v[12:13], v[0:1]
	v_lshrrev_b16 v0, 1, v9
	v_and_b32_e32 v10, 0xffff, v0
	s_delay_alu instid0(VALU_DEP_1) | instskip(SKIP_1) | instid1(VALU_DEP_2)
	v_mul_u32_u24_e32 v0, 0x147b, v10
	v_mul_u32_u24_e32 v10, 0xda75, v10
	v_lshrrev_b32_e32 v147, 17, v0
	s_delay_alu instid0(VALU_DEP_1) | instskip(NEXT) | instid1(VALU_DEP_1)
	v_mul_lo_u16 v0, v147, 50
	v_sub_nc_u16 v148, v9, v0
	s_delay_alu instid0(VALU_DEP_1) | instskip(NEXT) | instid1(VALU_DEP_1)
	v_lshlrev_b16 v0, 5, v148
	v_and_b32_e32 v0, 0xffff, v0
	s_delay_alu instid0(VALU_DEP_1)
	v_add_co_u32 v11, s2, s10, v0
	s_wait_alu 0xf1ff
	v_add_co_ci_u32_e64 v12, null, s11, 0, s2
	ds_load_b128 v[0:3], v116 offset:25920
	global_load_b128 v[22:25], v[11:12], off offset:640
	s_wait_loadcnt_dscnt 0x0
	v_mul_f64_e32 v[13:14], v[2:3], v[24:25]
	s_delay_alu instid0(VALU_DEP_1)
	v_fma_f64 v[38:39], v[0:1], v[22:23], -v[13:14]
	global_load_b128 v[13:16], v[11:12], off offset:656
	v_mul_f64_e32 v[0:1], v[0:1], v[24:25]
	scratch_store_b128 off, v[22:25], off offset:804 ; 16-byte Folded Spill
	v_fma_f64 v[40:41], v[2:3], v[22:23], v[0:1]
	ds_load_b128 v[0:3], v116 offset:47520
	s_wait_loadcnt 0x0
	scratch_store_b128 off, v[13:16], off offset:820 ; 16-byte Folded Spill
	s_wait_dscnt 0x0
	v_mul_f64_e32 v[11:12], v[2:3], v[15:16]
	s_delay_alu instid0(VALU_DEP_1) | instskip(SKIP_1) | instid1(VALU_DEP_2)
	v_fma_f64 v[42:43], v[0:1], v[13:14], -v[11:12]
	v_mul_f64_e32 v[0:1], v[0:1], v[15:16]
	v_add_f64_e32 v[46:47], v[38:39], v[42:43]
	s_delay_alu instid0(VALU_DEP_2) | instskip(SKIP_1) | instid1(VALU_DEP_1)
	v_fma_f64 v[44:45], v[2:3], v[13:14], v[0:1]
	v_lshrrev_b16 v0, 1, v95
	v_and_b32_e32 v11, 0xffff, v0
	s_delay_alu instid0(VALU_DEP_1) | instskip(NEXT) | instid1(VALU_DEP_1)
	v_mul_u32_u24_e32 v0, 0x147b, v11
	v_lshrrev_b32_e32 v149, 17, v0
	s_delay_alu instid0(VALU_DEP_1) | instskip(NEXT) | instid1(VALU_DEP_1)
	v_mul_lo_u16 v0, v149, 50
	v_sub_nc_u16 v150, v95, v0
	s_delay_alu instid0(VALU_DEP_1) | instskip(NEXT) | instid1(VALU_DEP_1)
	v_lshlrev_b16 v0, 5, v150
	v_and_b32_e32 v0, 0xffff, v0
	v_add_f64_e32 v[48:49], v[40:41], v[44:45]
	s_delay_alu instid0(VALU_DEP_2)
	v_add_co_u32 v12, s2, s10, v0
	s_wait_alu 0xf1ff
	v_add_co_ci_u32_e64 v13, null, s11, 0, s2
	ds_load_b128 v[0:3], v116 offset:28080
	global_load_b128 v[22:25], v[12:13], off offset:640
	s_wait_loadcnt_dscnt 0x0
	v_mul_f64_e32 v[14:15], v[2:3], v[24:25]
	s_delay_alu instid0(VALU_DEP_1)
	v_fma_f64 v[50:51], v[0:1], v[22:23], -v[14:15]
	global_load_b128 v[14:17], v[12:13], off offset:656
	v_mul_f64_e32 v[0:1], v[0:1], v[24:25]
	scratch_store_b128 off, v[22:25], off offset:788 ; 16-byte Folded Spill
	v_fma_f64 v[52:53], v[2:3], v[22:23], v[0:1]
	ds_load_b128 v[0:3], v116 offset:49680
	s_wait_loadcnt 0x0
	scratch_store_b128 off, v[14:17], off offset:612 ; 16-byte Folded Spill
	s_wait_dscnt 0x0
	v_mul_f64_e32 v[12:13], v[2:3], v[16:17]
	s_delay_alu instid0(VALU_DEP_1) | instskip(SKIP_1) | instid1(VALU_DEP_2)
	v_fma_f64 v[54:55], v[0:1], v[14:15], -v[12:13]
	v_mul_f64_e32 v[0:1], v[0:1], v[16:17]
	v_add_f64_e32 v[58:59], v[50:51], v[54:55]
	s_delay_alu instid0(VALU_DEP_2) | instskip(SKIP_1) | instid1(VALU_DEP_1)
	v_fma_f64 v[56:57], v[2:3], v[14:15], v[0:1]
	v_lshrrev_b16 v0, 1, v94
	v_and_b32_e32 v12, 0xffff, v0
	s_delay_alu instid0(VALU_DEP_1) | instskip(NEXT) | instid1(VALU_DEP_1)
	v_mul_u32_u24_e32 v0, 0x147b, v12
	v_lshrrev_b32_e32 v151, 17, v0
	s_delay_alu instid0(VALU_DEP_1) | instskip(NEXT) | instid1(VALU_DEP_1)
	v_mul_lo_u16 v0, v151, 50
	v_sub_nc_u16 v152, v94, v0
	s_delay_alu instid0(VALU_DEP_1) | instskip(NEXT) | instid1(VALU_DEP_1)
	v_lshlrev_b16 v0, 5, v152
	v_and_b32_e32 v0, 0xffff, v0
	v_add_f64_e32 v[60:61], v[52:53], v[56:57]
	s_delay_alu instid0(VALU_DEP_2)
	v_add_co_u32 v13, s2, s10, v0
	s_wait_alu 0xf1ff
	v_add_co_ci_u32_e64 v14, null, s11, 0, s2
	ds_load_b128 v[0:3], v116 offset:30240
	global_load_b128 v[22:25], v[13:14], off offset:640
	s_wait_loadcnt_dscnt 0x0
	v_mul_f64_e32 v[15:16], v[2:3], v[24:25]
	scratch_store_b128 off, v[22:25], off offset:756 ; 16-byte Folded Spill
	v_fma_f64 v[62:63], v[0:1], v[22:23], -v[15:16]
	v_mul_f64_e32 v[0:1], v[0:1], v[24:25]
	s_delay_alu instid0(VALU_DEP_1)
	v_fma_f64 v[64:65], v[2:3], v[22:23], v[0:1]
	global_load_b128 v[22:25], v[13:14], off offset:656
	ds_load_b128 v[0:3], v116 offset:51840
	s_wait_loadcnt_dscnt 0x0
	v_mul_f64_e32 v[13:14], v[2:3], v[24:25]
	scratch_store_b128 off, v[22:25], off offset:772 ; 16-byte Folded Spill
	v_fma_f64 v[66:67], v[0:1], v[22:23], -v[13:14]
	v_mul_f64_e32 v[0:1], v[0:1], v[24:25]
	s_delay_alu instid0(VALU_DEP_2) | instskip(NEXT) | instid1(VALU_DEP_2)
	v_add_f64_e32 v[70:71], v[62:63], v[66:67]
	v_fma_f64 v[68:69], v[2:3], v[22:23], v[0:1]
	v_lshrrev_b16 v0, 1, v93
	s_delay_alu instid0(VALU_DEP_1) | instskip(NEXT) | instid1(VALU_DEP_1)
	v_and_b32_e32 v13, 0xffff, v0
	v_mul_u32_u24_e32 v0, 0x147b, v13
	s_delay_alu instid0(VALU_DEP_1) | instskip(NEXT) | instid1(VALU_DEP_1)
	v_lshrrev_b32_e32 v153, 17, v0
	v_mul_lo_u16 v0, v153, 50
	s_delay_alu instid0(VALU_DEP_1) | instskip(NEXT) | instid1(VALU_DEP_1)
	v_sub_nc_u16 v154, v93, v0
	v_lshlrev_b16 v0, 5, v154
	s_delay_alu instid0(VALU_DEP_1) | instskip(SKIP_1) | instid1(VALU_DEP_2)
	v_and_b32_e32 v0, 0xffff, v0
	v_add_f64_e32 v[72:73], v[64:65], v[68:69]
	v_add_co_u32 v14, s2, s10, v0
	s_wait_alu 0xf1ff
	v_add_co_ci_u32_e64 v15, null, s11, 0, s2
	ds_load_b128 v[0:3], v116 offset:32400
	global_load_b128 v[22:25], v[14:15], off offset:640
	s_wait_loadcnt_dscnt 0x0
	v_mul_f64_e32 v[16:17], v[2:3], v[24:25]
	scratch_store_b128 off, v[22:25], off offset:740 ; 16-byte Folded Spill
	v_fma_f64 v[74:75], v[0:1], v[22:23], -v[16:17]
	v_mul_f64_e32 v[0:1], v[0:1], v[24:25]
	s_delay_alu instid0(VALU_DEP_1) | instskip(SKIP_4) | instid1(VALU_DEP_1)
	v_fma_f64 v[76:77], v[2:3], v[22:23], v[0:1]
	global_load_b128 v[22:25], v[14:15], off offset:656
	ds_load_b128 v[0:3], v116 offset:54000
	s_wait_loadcnt_dscnt 0x0
	v_mul_f64_e32 v[14:15], v[2:3], v[24:25]
	v_fma_f64 v[78:79], v[0:1], v[22:23], -v[14:15]
	v_mul_f64_e32 v[0:1], v[0:1], v[24:25]
	s_delay_alu instid0(VALU_DEP_2) | instskip(NEXT) | instid1(VALU_DEP_2)
	v_add_f64_e32 v[82:83], v[74:75], v[78:79]
	v_fma_f64 v[80:81], v[2:3], v[22:23], v[0:1]
	v_lshrrev_b16 v0, 1, v99
	s_delay_alu instid0(VALU_DEP_1) | instskip(NEXT) | instid1(VALU_DEP_1)
	v_and_b32_e32 v14, 0xffff, v0
	v_mul_u32_u24_e32 v0, 0x147b, v14
	s_delay_alu instid0(VALU_DEP_1) | instskip(NEXT) | instid1(VALU_DEP_1)
	v_lshrrev_b32_e32 v155, 17, v0
	v_mul_lo_u16 v0, v155, 50
	s_delay_alu instid0(VALU_DEP_1) | instskip(NEXT) | instid1(VALU_DEP_1)
	v_sub_nc_u16 v156, v99, v0
	v_lshlrev_b16 v0, 5, v156
	s_delay_alu instid0(VALU_DEP_1) | instskip(SKIP_1) | instid1(VALU_DEP_2)
	v_and_b32_e32 v0, 0xffff, v0
	v_add_f64_e32 v[84:85], v[76:77], v[80:81]
	v_add_co_u32 v15, s2, s10, v0
	s_wait_alu 0xf1ff
	v_add_co_ci_u32_e64 v16, null, s11, 0, s2
	ds_load_b128 v[0:3], v116 offset:34560
	global_load_b128 v[34:37], v[15:16], off offset:640
	scratch_store_b128 off, v[22:25], off offset:596 ; 16-byte Folded Spill
	s_wait_loadcnt 0x0
	scratch_store_b128 off, v[34:37], off offset:692 ; 16-byte Folded Spill
	s_wait_dscnt 0x0
	v_mul_f64_e32 v[22:23], v[2:3], v[36:37]
	s_delay_alu instid0(VALU_DEP_1) | instskip(SKIP_2) | instid1(VALU_DEP_1)
	v_fma_f64 v[86:87], v[0:1], v[34:35], -v[22:23]
	global_load_b128 v[22:25], v[15:16], off offset:656
	v_mul_f64_e32 v[0:1], v[0:1], v[36:37]
	v_fma_f64 v[88:89], v[2:3], v[34:35], v[0:1]
	ds_load_b128 v[0:3], v116 offset:56160
	s_wait_loadcnt_dscnt 0x0
	v_mul_f64_e32 v[15:16], v[2:3], v[24:25]
	scratch_store_b128 off, v[22:25], off offset:724 ; 16-byte Folded Spill
	v_fma_f64 v[90:91], v[0:1], v[22:23], -v[15:16]
	v_mul_f64_e32 v[0:1], v[0:1], v[24:25]
	s_delay_alu instid0(VALU_DEP_2) | instskip(NEXT) | instid1(VALU_DEP_2)
	v_add_f64_e32 v[102:103], v[86:87], v[90:91]
	v_fma_f64 v[100:101], v[2:3], v[22:23], v[0:1]
	v_lshrrev_b16 v0, 1, v98
	s_delay_alu instid0(VALU_DEP_1) | instskip(NEXT) | instid1(VALU_DEP_1)
	v_and_b32_e32 v15, 0xffff, v0
	v_mul_u32_u24_e32 v0, 0x147b, v15
	s_delay_alu instid0(VALU_DEP_1) | instskip(NEXT) | instid1(VALU_DEP_1)
	v_lshrrev_b32_e32 v157, 17, v0
	v_mul_lo_u16 v0, v157, 50
	s_delay_alu instid0(VALU_DEP_1) | instskip(NEXT) | instid1(VALU_DEP_1)
	v_sub_nc_u16 v158, v98, v0
	v_lshlrev_b16 v0, 5, v158
	s_delay_alu instid0(VALU_DEP_1) | instskip(SKIP_1) | instid1(VALU_DEP_2)
	v_and_b32_e32 v0, 0xffff, v0
	v_add_f64_e32 v[104:105], v[88:89], v[100:101]
	v_add_co_u32 v16, s2, s10, v0
	s_wait_alu 0xf1ff
	v_add_co_ci_u32_e64 v17, null, s11, 0, s2
	ds_load_b128 v[0:3], v116 offset:36720
	global_load_b128 v[34:37], v[16:17], off offset:640
	s_wait_loadcnt_dscnt 0x0
	v_mul_f64_e32 v[22:23], v[2:3], v[36:37]
	s_delay_alu instid0(VALU_DEP_1)
	v_fma_f64 v[108:109], v[0:1], v[34:35], -v[22:23]
	global_load_b128 v[22:25], v[16:17], off offset:656
	v_mul_f64_e32 v[0:1], v[0:1], v[36:37]
	scratch_store_b128 off, v[34:37], off offset:708 ; 16-byte Folded Spill
	v_fma_f64 v[110:111], v[2:3], v[34:35], v[0:1]
	ds_load_b128 v[0:3], v116 offset:58320
	s_wait_loadcnt 0x0
	scratch_store_b128 off, v[22:25], off offset:580 ; 16-byte Folded Spill
	s_wait_dscnt 0x0
	v_mul_f64_e32 v[16:17], v[2:3], v[24:25]
	s_delay_alu instid0(VALU_DEP_1) | instskip(SKIP_1) | instid1(VALU_DEP_1)
	v_fma_f64 v[112:113], v[0:1], v[22:23], -v[16:17]
	v_mul_f64_e32 v[0:1], v[0:1], v[24:25]
	v_fma_f64 v[114:115], v[2:3], v[22:23], v[0:1]
	v_lshrrev_b16 v0, 1, v97
	s_delay_alu instid0(VALU_DEP_1) | instskip(NEXT) | instid1(VALU_DEP_1)
	v_and_b32_e32 v16, 0xffff, v0
	v_mul_u32_u24_e32 v0, 0x147b, v16
	s_delay_alu instid0(VALU_DEP_1) | instskip(NEXT) | instid1(VALU_DEP_1)
	v_lshrrev_b32_e32 v159, 17, v0
	v_mul_lo_u16 v0, v159, 50
	s_delay_alu instid0(VALU_DEP_1) | instskip(NEXT) | instid1(VALU_DEP_1)
	v_sub_nc_u16 v160, v97, v0
	v_lshlrev_b16 v0, 5, v160
	s_delay_alu instid0(VALU_DEP_1) | instskip(SKIP_1) | instid1(VALU_DEP_2)
	v_and_b32_e32 v0, 0xffff, v0
	v_add_f64_e32 v[118:119], v[110:111], v[114:115]
	v_add_co_u32 v22, s2, s10, v0
	s_wait_alu 0xf1ff
	v_add_co_ci_u32_e64 v23, null, s11, 0, s2
	ds_load_b128 v[0:3], v116 offset:38880
	global_load_b128 v[34:37], v[22:23], off offset:640
	s_wait_loadcnt_dscnt 0x0
	v_mul_f64_e32 v[24:25], v[2:3], v[36:37]
	scratch_store_b128 off, v[34:37], off offset:628 ; 16-byte Folded Spill
	v_fma_f64 v[122:123], v[0:1], v[34:35], -v[24:25]
	v_mul_f64_e32 v[0:1], v[0:1], v[36:37]
	s_delay_alu instid0(VALU_DEP_1)
	v_fma_f64 v[124:125], v[2:3], v[34:35], v[0:1]
	global_load_b128 v[34:37], v[22:23], off offset:656
	ds_load_b128 v[0:3], v116 offset:60480
	s_wait_loadcnt_dscnt 0x0
	v_mul_f64_e32 v[22:23], v[2:3], v[36:37]
	scratch_store_b128 off, v[34:37], off offset:660 ; 16-byte Folded Spill
	v_fma_f64 v[126:127], v[0:1], v[34:35], -v[22:23]
	v_mul_f64_e32 v[0:1], v[0:1], v[36:37]
	s_delay_alu instid0(VALU_DEP_1) | instskip(SKIP_1) | instid1(VALU_DEP_1)
	v_fma_f64 v[128:129], v[2:3], v[34:35], v[0:1]
	v_lshrrev_b16 v0, 1, v96
	v_and_b32_e32 v17, 0xffff, v0
	s_delay_alu instid0(VALU_DEP_1) | instskip(NEXT) | instid1(VALU_DEP_1)
	v_mul_u32_u24_e32 v0, 0x147b, v17
	v_lshrrev_b32_e32 v161, 17, v0
	s_delay_alu instid0(VALU_DEP_1) | instskip(NEXT) | instid1(VALU_DEP_1)
	v_mul_lo_u16 v0, v161, 50
	v_sub_nc_u16 v162, v96, v0
	s_delay_alu instid0(VALU_DEP_1) | instskip(NEXT) | instid1(VALU_DEP_1)
	v_lshlrev_b16 v0, 5, v162
	v_and_b32_e32 v0, 0xffff, v0
	v_add_f64_e32 v[130:131], v[124:125], v[128:129]
	s_delay_alu instid0(VALU_DEP_2)
	v_add_co_u32 v22, s2, s10, v0
	s_wait_alu 0xf1ff
	v_add_co_ci_u32_e64 v23, null, s11, 0, s2
	ds_load_b128 v[0:3], v116 offset:41040
	s_mov_b32 s2, s12
	global_load_b128 v[34:37], v[22:23], off offset:640
	s_wait_loadcnt_dscnt 0x0
	v_mul_f64_e32 v[24:25], v[2:3], v[36:37]
	scratch_store_b128 off, v[34:37], off offset:644 ; 16-byte Folded Spill
	v_fma_f64 v[134:135], v[0:1], v[34:35], -v[24:25]
	v_mul_f64_e32 v[0:1], v[0:1], v[36:37]
	v_add_f64_e32 v[24:25], v[6:7], v[20:21]
	s_delay_alu instid0(VALU_DEP_2)
	v_fma_f64 v[136:137], v[2:3], v[34:35], v[0:1]
	global_load_b128 v[34:37], v[22:23], off offset:656
	ds_load_b128 v[0:3], v116 offset:62640
	s_wait_loadcnt_dscnt 0x0
	v_mul_f64_e32 v[22:23], v[2:3], v[36:37]
	scratch_store_b128 off, v[34:37], off offset:564 ; 16-byte Folded Spill
	v_fma_f64 v[138:139], v[0:1], v[34:35], -v[22:23]
	v_mul_f64_e32 v[0:1], v[0:1], v[36:37]
	v_add_f64_e32 v[22:23], v[4:5], v[18:19]
	v_add_f64_e32 v[36:37], v[28:29], v[32:33]
	s_delay_alu instid0(VALU_DEP_3)
	v_fma_f64 v[140:141], v[2:3], v[34:35], v[0:1]
	ds_load_b128 v[0:3], v116
	v_add_f64_e32 v[34:35], v[26:27], v[30:31]
	s_wait_dscnt 0x0
	v_fma_f64 v[24:25], v[24:25], -0.5, v[2:3]
	v_add_f64_e32 v[2:3], v[2:3], v[6:7]
	v_fma_f64 v[22:23], v[22:23], -0.5, v[0:1]
	v_add_f64_e32 v[0:1], v[0:1], v[4:5]
	v_add_f64_e64 v[6:7], v[6:7], -v[20:21]
	v_add_f64_e32 v[142:143], v[136:137], v[140:141]
	v_add_f64_e32 v[2:3], v[2:3], v[20:21]
	v_add_f64_e64 v[20:21], v[4:5], -v[18:19]
	v_add_f64_e32 v[0:1], v[0:1], v[18:19]
	v_fma_f64 v[4:5], v[6:7], s[12:13], v[22:23]
	s_wait_alu 0xfffe
	v_fma_f64 v[18:19], v[6:7], s[2:3], v[22:23]
	s_delay_alu instid0(VALU_DEP_4)
	v_fma_f64 v[6:7], v[20:21], s[2:3], v[24:25]
	v_fma_f64 v[20:21], v[20:21], s[12:13], v[24:25]
	ds_load_b128 v[22:25], v116 offset:2160
	s_wait_dscnt 0x0
	v_fma_f64 v[36:37], v[36:37], -0.5, v[24:25]
	v_add_f64_e32 v[24:25], v[24:25], v[28:29]
	v_fma_f64 v[34:35], v[34:35], -0.5, v[22:23]
	v_add_f64_e32 v[22:23], v[22:23], v[26:27]
	v_add_f64_e64 v[28:29], v[28:29], -v[32:33]
	s_delay_alu instid0(VALU_DEP_4) | instskip(SKIP_1) | instid1(VALU_DEP_4)
	v_add_f64_e32 v[24:25], v[24:25], v[32:33]
	v_add_f64_e64 v[32:33], v[26:27], -v[30:31]
	v_add_f64_e32 v[22:23], v[22:23], v[30:31]
	s_delay_alu instid0(VALU_DEP_4) | instskip(SKIP_1) | instid1(VALU_DEP_4)
	v_fma_f64 v[26:27], v[28:29], s[12:13], v[34:35]
	v_fma_f64 v[30:31], v[28:29], s[2:3], v[34:35]
	v_fma_f64 v[28:29], v[32:33], s[2:3], v[36:37]
	v_fma_f64 v[32:33], v[32:33], s[12:13], v[36:37]
	ds_load_b128 v[34:37], v116 offset:4320
	s_wait_dscnt 0x0
	v_fma_f64 v[48:49], v[48:49], -0.5, v[36:37]
	v_add_f64_e32 v[36:37], v[36:37], v[40:41]
	v_fma_f64 v[46:47], v[46:47], -0.5, v[34:35]
	v_add_f64_e32 v[34:35], v[34:35], v[38:39]
	v_add_f64_e64 v[40:41], v[40:41], -v[44:45]
	s_delay_alu instid0(VALU_DEP_4) | instskip(SKIP_1) | instid1(VALU_DEP_4)
	v_add_f64_e32 v[36:37], v[36:37], v[44:45]
	v_add_f64_e64 v[44:45], v[38:39], -v[42:43]
	v_add_f64_e32 v[34:35], v[34:35], v[42:43]
	s_delay_alu instid0(VALU_DEP_4) | instskip(SKIP_1) | instid1(VALU_DEP_4)
	v_fma_f64 v[38:39], v[40:41], s[12:13], v[46:47]
	v_fma_f64 v[42:43], v[40:41], s[2:3], v[46:47]
	;; [unrolled: 16-line block ×6, first 2 shown]
	v_fma_f64 v[88:89], v[90:91], s[2:3], v[104:105]
	v_fma_f64 v[102:103], v[90:91], s[12:13], v[104:105]
	ds_load_b128 v[104:107], v116 offset:15120
	v_add_f64_e32 v[90:91], v[108:109], v[112:113]
	s_wait_dscnt 0x0
	v_fma_f64 v[118:119], v[118:119], -0.5, v[106:107]
	v_add_f64_e32 v[106:107], v[106:107], v[110:111]
	v_add_f64_e64 v[110:111], v[110:111], -v[114:115]
	s_delay_alu instid0(VALU_DEP_4) | instskip(SKIP_1) | instid1(VALU_DEP_4)
	v_fma_f64 v[90:91], v[90:91], -0.5, v[104:105]
	v_add_f64_e32 v[104:105], v[104:105], v[108:109]
	v_add_f64_e32 v[106:107], v[106:107], v[114:115]
	v_add_f64_e64 v[114:115], v[108:109], -v[112:113]
	s_delay_alu instid0(VALU_DEP_4) | instskip(NEXT) | instid1(VALU_DEP_4)
	v_fma_f64 v[108:109], v[110:111], s[12:13], v[90:91]
	v_add_f64_e32 v[104:105], v[104:105], v[112:113]
	v_fma_f64 v[112:113], v[110:111], s[2:3], v[90:91]
	v_add_f64_e32 v[90:91], v[122:123], v[126:127]
	v_fma_f64 v[110:111], v[114:115], s[2:3], v[118:119]
	v_fma_f64 v[114:115], v[114:115], s[12:13], v[118:119]
	ds_load_b128 v[118:121], v116 offset:17280
	s_wait_dscnt 0x0
	v_fma_f64 v[130:131], v[130:131], -0.5, v[120:121]
	v_add_f64_e32 v[120:121], v[120:121], v[124:125]
	v_fma_f64 v[90:91], v[90:91], -0.5, v[118:119]
	v_add_f64_e32 v[118:119], v[118:119], v[122:123]
	v_add_f64_e64 v[124:125], v[124:125], -v[128:129]
	s_delay_alu instid0(VALU_DEP_4) | instskip(SKIP_1) | instid1(VALU_DEP_4)
	v_add_f64_e32 v[120:121], v[120:121], v[128:129]
	v_add_f64_e64 v[128:129], v[122:123], -v[126:127]
	v_add_f64_e32 v[118:119], v[118:119], v[126:127]
	s_delay_alu instid0(VALU_DEP_4)
	v_fma_f64 v[122:123], v[124:125], s[12:13], v[90:91]
	v_fma_f64 v[126:127], v[124:125], s[2:3], v[90:91]
	v_add_f64_e32 v[90:91], v[134:135], v[138:139]
	v_fma_f64 v[124:125], v[128:129], s[2:3], v[130:131]
	v_fma_f64 v[128:129], v[128:129], s[12:13], v[130:131]
	ds_load_b128 v[130:133], v116 offset:19440
	s_wait_dscnt 0x0
	v_fma_f64 v[90:91], v[90:91], -0.5, v[130:131]
	v_fma_f64 v[142:143], v[142:143], -0.5, v[132:133]
	v_add_f64_e32 v[132:133], v[132:133], v[136:137]
	v_add_f64_e32 v[130:131], v[130:131], v[134:135]
	v_add_f64_e64 v[136:137], v[136:137], -v[140:141]
	s_delay_alu instid0(VALU_DEP_3) | instskip(NEXT) | instid1(VALU_DEP_3)
	v_add_f64_e32 v[132:133], v[132:133], v[140:141]
	v_add_f64_e32 v[130:131], v[130:131], v[138:139]
	v_add_f64_e64 v[140:141], v[134:135], -v[138:139]
	s_delay_alu instid0(VALU_DEP_4) | instskip(SKIP_2) | instid1(VALU_DEP_1)
	v_fma_f64 v[134:135], v[136:137], s[12:13], v[90:91]
	v_fma_f64 v[138:139], v[136:137], s[2:3], v[90:91]
	v_and_b32_e32 v90, 0xffff, v92
	v_mul_u32_u24_e32 v90, 0x96, v90
	s_delay_alu instid0(VALU_DEP_1)
	v_add_lshl_u32 v90, v90, v144, 4
	scratch_store_b32 off, v90, off offset:560 ; 4-byte Folded Spill
	global_wb scope:SCOPE_SE
	s_wait_storecnt 0x0
	s_barrier_signal -1
	s_barrier_wait -1
	global_inv scope:SCOPE_SE
	ds_store_b128 v90, v[0:3]
	ds_store_b128 v90, v[4:7] offset:800
	ds_store_b128 v90, v[18:21] offset:1600
	v_mad_u16 v0, 0x96, v145, v146
	s_delay_alu instid0(VALU_DEP_1) | instskip(NEXT) | instid1(VALU_DEP_1)
	v_and_b32_e32 v0, 0xffff, v0
	v_lshlrev_b32_e32 v0, 4, v0
	v_fma_f64 v[136:137], v[140:141], s[2:3], v[142:143]
	scratch_store_b32 off, v0, off offset:556 ; 4-byte Folded Spill
	ds_store_b128 v0, v[22:25]
	ds_store_b128 v0, v[26:29] offset:800
	ds_store_b128 v0, v[30:33] offset:1600
	v_mad_u16 v0, 0x96, v147, v148
	v_fma_f64 v[140:141], v[140:141], s[12:13], v[142:143]
	s_delay_alu instid0(VALU_DEP_2) | instskip(NEXT) | instid1(VALU_DEP_1)
	v_and_b32_e32 v0, 0xffff, v0
	v_lshlrev_b32_e32 v0, 4, v0
	scratch_store_b32 off, v0, off offset:552 ; 4-byte Folded Spill
	ds_store_b128 v0, v[34:37]
	ds_store_b128 v0, v[38:41] offset:800
	ds_store_b128 v0, v[42:45] offset:1600
	v_mad_u16 v0, 0x96, v149, v150
	s_delay_alu instid0(VALU_DEP_1) | instskip(NEXT) | instid1(VALU_DEP_1)
	v_and_b32_e32 v0, 0xffff, v0
	v_lshlrev_b32_e32 v0, 4, v0
	scratch_store_b32 off, v0, off offset:548 ; 4-byte Folded Spill
	ds_store_b128 v0, v[46:49]
	ds_store_b128 v0, v[50:53] offset:800
	ds_store_b128 v0, v[54:57] offset:1600
	v_mad_u16 v0, 0x96, v151, v152
	s_delay_alu instid0(VALU_DEP_1) | instskip(NEXT) | instid1(VALU_DEP_1)
	v_and_b32_e32 v0, 0xffff, v0
	v_lshlrev_b32_e32 v0, 4, v0
	scratch_store_b32 off, v0, off offset:544 ; 4-byte Folded Spill
	ds_store_b128 v0, v[58:61]
	ds_store_b128 v0, v[62:65] offset:800
	ds_store_b128 v0, v[66:69] offset:1600
	v_mad_u16 v0, 0x96, v153, v154
	s_delay_alu instid0(VALU_DEP_1) | instskip(NEXT) | instid1(VALU_DEP_1)
	v_and_b32_e32 v0, 0xffff, v0
	v_lshlrev_b32_e32 v0, 4, v0
	scratch_store_b32 off, v0, off offset:540 ; 4-byte Folded Spill
	ds_store_b128 v0, v[70:73]
	ds_store_b128 v0, v[74:77] offset:800
	ds_store_b128 v0, v[78:81] offset:1600
	v_mad_u16 v0, 0x96, v155, v156
	s_delay_alu instid0(VALU_DEP_1) | instskip(NEXT) | instid1(VALU_DEP_1)
	v_and_b32_e32 v0, 0xffff, v0
	v_lshlrev_b32_e32 v0, 4, v0
	scratch_store_b32 off, v0, off offset:536 ; 4-byte Folded Spill
	ds_store_b128 v0, v[82:85]
	ds_store_b128 v0, v[86:89] offset:800
	ds_store_b128 v0, v[100:103] offset:1600
	v_mad_u16 v0, 0x96, v157, v158
	v_lshlrev_b32_e32 v100, 5, v248
	s_delay_alu instid0(VALU_DEP_2) | instskip(NEXT) | instid1(VALU_DEP_1)
	v_and_b32_e32 v0, 0xffff, v0
	v_lshlrev_b32_e32 v0, 4, v0
	scratch_store_b32 off, v0, off offset:532 ; 4-byte Folded Spill
	ds_store_b128 v0, v[104:107]
	ds_store_b128 v0, v[108:111] offset:800
	ds_store_b128 v0, v[112:115] offset:1600
	v_mad_u16 v0, 0x96, v159, v160
	v_lshrrev_b32_e32 v115, 22, v10
	s_delay_alu instid0(VALU_DEP_2) | instskip(NEXT) | instid1(VALU_DEP_2)
	v_and_b32_e32 v0, 0xffff, v0
	v_mul_lo_u16 v10, 0x96, v115
	s_delay_alu instid0(VALU_DEP_2)
	v_lshlrev_b32_e32 v0, 4, v0
	scratch_store_b32 off, v0, off offset:528 ; 4-byte Folded Spill
	ds_store_b128 v0, v[118:121]
	ds_store_b128 v0, v[122:125] offset:800
	ds_store_b128 v0, v[126:129] offset:1600
	v_mad_u16 v0, 0x96, v161, v162
	s_delay_alu instid0(VALU_DEP_1) | instskip(NEXT) | instid1(VALU_DEP_1)
	v_and_b32_e32 v0, 0xffff, v0
	v_lshlrev_b32_e32 v0, 4, v0
	scratch_store_b32 off, v0, off offset:524 ; 4-byte Folded Spill
	ds_store_b128 v0, v[130:133]
	ds_store_b128 v0, v[134:137] offset:800
	ds_store_b128 v0, v[138:141] offset:1600
	global_wb scope:SCOPE_SE
	s_wait_storecnt_dscnt 0x0
	s_barrier_signal -1
	s_barrier_wait -1
	global_inv scope:SCOPE_SE
	s_clause 0x1
	global_load_b128 v[18:21], v100, s[10:11] offset:2240
	global_load_b128 v[22:25], v100, s[10:11] offset:2256
	ds_load_b128 v[2:5], v116 offset:21600
	v_sub_nc_u16 v138, v9, v10
	scratch_store_b32 off, v248, off offset:488 ; 4-byte Folded Spill
	v_lshlrev_b16 v10, 5, v138
	s_delay_alu instid0(VALU_DEP_1)
	v_and_b32_e32 v10, 0xffff, v10
	s_wait_loadcnt_dscnt 0x100
	v_mul_f64_e32 v[0:1], v[4:5], v[20:21]
	scratch_store_b128 off, v[18:21], off offset:492 ; 16-byte Folded Spill
	s_wait_loadcnt 0x0
	scratch_store_b128 off, v[22:25], off offset:508 ; 16-byte Folded Spill
	v_fma_f64 v[0:1], v[2:3], v[18:19], -v[0:1]
	v_mul_f64_e32 v[2:3], v[2:3], v[20:21]
	s_delay_alu instid0(VALU_DEP_1) | instskip(SKIP_4) | instid1(VALU_DEP_2)
	v_fma_f64 v[2:3], v[4:5], v[18:19], v[2:3]
	ds_load_b128 v[18:21], v116 offset:43200
	s_wait_dscnt 0x0
	v_mul_f64_e32 v[4:5], v[20:21], v[24:25]
	v_mul_f64_e32 v[6:7], v[18:19], v[24:25]
	v_fma_f64 v[4:5], v[18:19], v[22:23], -v[4:5]
	v_add_co_u32 v18, s33, v248, -15
	s_delay_alu instid0(VALU_DEP_3) | instskip(SKIP_2) | instid1(VALU_DEP_1)
	v_fma_f64 v[6:7], v[20:21], v[22:23], v[6:7]
	v_add_co_ci_u32_e64 v19, null, 0, 0, s31
	v_add_co_ci_u32_e64 v20, null, 0, -1, s33
	v_dual_cndmask_b32 v90, v18, v8 :: v_dual_cndmask_b32 v91, v20, v19
	s_delay_alu instid0(VALU_DEP_1) | instskip(NEXT) | instid1(VALU_DEP_1)
	v_lshlrev_b64_e32 v[18:19], 5, v[90:91]
	v_add_co_u32 v22, vcc_lo, s10, v18
	s_wait_alu 0xfffd
	s_delay_alu instid0(VALU_DEP_2)
	v_add_co_ci_u32_e32 v23, vcc_lo, s11, v19, vcc_lo
	ds_load_b128 v[18:21], v116 offset:23760
	v_cmp_lt_u16_e32 vcc_lo, 14, v117
	global_load_b128 v[26:29], v[22:23], off offset:2240
	s_wait_loadcnt_dscnt 0x0
	v_mul_f64_e32 v[24:25], v[20:21], v[28:29]
	scratch_store_b128 off, v[26:29], off offset:1696 ; 16-byte Folded Spill
	v_fma_f64 v[24:25], v[18:19], v[26:27], -v[24:25]
	v_mul_f64_e32 v[18:19], v[18:19], v[28:29]
	global_load_b128 v[28:31], v[22:23], off offset:2256
	v_fma_f64 v[26:27], v[20:21], v[26:27], v[18:19]
	ds_load_b128 v[18:21], v116 offset:45360
	s_wait_loadcnt_dscnt 0x0
	v_mul_f64_e32 v[22:23], v[20:21], v[30:31]
	scratch_store_b128 off, v[28:31], off offset:1616 ; 16-byte Folded Spill
	v_fma_f64 v[22:23], v[18:19], v[28:29], -v[22:23]
	v_mul_f64_e32 v[18:19], v[18:19], v[30:31]
	v_add_co_u32 v30, s31, s10, v10
	s_wait_alu 0xf1ff
	v_add_co_ci_u32_e64 v31, null, s11, 0, s31
	v_mul_u32_u24_e32 v10, 0xda75, v11
	global_load_b128 v[34:37], v[30:31], off offset:2240
	v_lshrrev_b32_e32 v139, 22, v10
	s_delay_alu instid0(VALU_DEP_1) | instskip(NEXT) | instid1(VALU_DEP_1)
	v_mul_lo_u16 v10, 0x96, v139
	v_sub_nc_u16 v140, v95, v10
	s_delay_alu instid0(VALU_DEP_1) | instskip(NEXT) | instid1(VALU_DEP_1)
	v_lshlrev_b16 v10, 5, v140
	v_and_b32_e32 v10, 0xffff, v10
	s_delay_alu instid0(VALU_DEP_1)
	v_add_co_u32 v10, s31, s10, v10
	s_wait_alu 0xf1ff
	v_add_co_ci_u32_e64 v11, null, s11, 0, s31
	v_fma_f64 v[28:29], v[20:21], v[28:29], v[18:19]
	ds_load_b128 v[18:21], v116 offset:25920
	global_load_b128 v[44:47], v[10:11], off offset:2240
	s_wait_loadcnt_dscnt 0x100
	v_mul_f64_e32 v[32:33], v[20:21], v[36:37]
	scratch_store_b128 off, v[34:37], off offset:1664 ; 16-byte Folded Spill
	v_fma_f64 v[32:33], v[18:19], v[34:35], -v[32:33]
	v_mul_f64_e32 v[18:19], v[18:19], v[36:37]
	global_load_b128 v[36:39], v[30:31], off offset:2256
	v_fma_f64 v[34:35], v[20:21], v[34:35], v[18:19]
	ds_load_b128 v[18:21], v116 offset:47520
	s_wait_loadcnt_dscnt 0x0
	v_mul_f64_e32 v[30:31], v[20:21], v[38:39]
	scratch_store_b128 off, v[36:39], off offset:1680 ; 16-byte Folded Spill
	v_fma_f64 v[30:31], v[18:19], v[36:37], -v[30:31]
	v_mul_f64_e32 v[18:19], v[18:19], v[38:39]
	s_delay_alu instid0(VALU_DEP_1) | instskip(SKIP_3) | instid1(VALU_DEP_1)
	v_fma_f64 v[36:37], v[20:21], v[36:37], v[18:19]
	ds_load_b128 v[18:21], v116 offset:28080
	s_wait_dscnt 0x0
	v_mul_f64_e32 v[38:39], v[20:21], v[46:47]
	v_fma_f64 v[42:43], v[18:19], v[44:45], -v[38:39]
	global_load_b128 v[38:41], v[10:11], off offset:2256
	v_mul_f64_e32 v[18:19], v[18:19], v[46:47]
	scratch_store_b128 off, v[44:47], off offset:1648 ; 16-byte Folded Spill
	v_fma_f64 v[44:45], v[20:21], v[44:45], v[18:19]
	ds_load_b128 v[18:21], v116 offset:49680
	s_wait_loadcnt 0x0
	scratch_store_b128 off, v[38:41], off offset:1552 ; 16-byte Folded Spill
	s_wait_dscnt 0x0
	v_mul_f64_e32 v[10:11], v[20:21], v[40:41]
	s_delay_alu instid0(VALU_DEP_1) | instskip(SKIP_1) | instid1(VALU_DEP_1)
	v_fma_f64 v[46:47], v[18:19], v[38:39], -v[10:11]
	v_mul_f64_e32 v[10:11], v[18:19], v[40:41]
	v_fma_f64 v[48:49], v[20:21], v[38:39], v[10:11]
	v_mul_u32_u24_e32 v10, 0xda75, v12
	ds_load_b128 v[18:21], v116 offset:30240
	v_lshrrev_b32_e32 v141, 22, v10
	s_delay_alu instid0(VALU_DEP_1) | instskip(NEXT) | instid1(VALU_DEP_1)
	v_mul_lo_u16 v10, 0x96, v141
	v_sub_nc_u16 v142, v94, v10
	s_delay_alu instid0(VALU_DEP_1) | instskip(NEXT) | instid1(VALU_DEP_1)
	v_lshlrev_b16 v10, 5, v142
	v_and_b32_e32 v10, 0xffff, v10
	s_delay_alu instid0(VALU_DEP_1)
	v_add_co_u32 v10, s31, s10, v10
	s_wait_alu 0xf1ff
	v_add_co_ci_u32_e64 v11, null, s11, 0, s31
	global_load_b128 v[50:53], v[10:11], off offset:2240
	s_wait_loadcnt_dscnt 0x0
	v_mul_f64_e32 v[38:39], v[20:21], v[52:53]
	s_delay_alu instid0(VALU_DEP_1) | instskip(SKIP_2) | instid1(VALU_DEP_1)
	v_fma_f64 v[54:55], v[18:19], v[50:51], -v[38:39]
	global_load_b128 v[38:41], v[10:11], off offset:2256
	v_mul_f64_e32 v[18:19], v[18:19], v[52:53]
	v_fma_f64 v[56:57], v[20:21], v[50:51], v[18:19]
	ds_load_b128 v[18:21], v116 offset:51840
	s_wait_loadcnt_dscnt 0x0
	v_mul_f64_e32 v[10:11], v[20:21], v[40:41]
	scratch_store_b128 off, v[38:41], off offset:1632 ; 16-byte Folded Spill
	v_fma_f64 v[58:59], v[18:19], v[38:39], -v[10:11]
	v_mul_f64_e32 v[10:11], v[18:19], v[40:41]
	s_delay_alu instid0(VALU_DEP_2) | instskip(NEXT) | instid1(VALU_DEP_2)
	v_add_f64_e32 v[62:63], v[54:55], v[58:59]
	v_fma_f64 v[60:61], v[20:21], v[38:39], v[10:11]
	v_mul_u32_u24_e32 v10, 0xda75, v13
	s_delay_alu instid0(VALU_DEP_1) | instskip(NEXT) | instid1(VALU_DEP_1)
	v_lshrrev_b32_e32 v143, 22, v10
	v_mul_lo_u16 v10, 0x96, v143
	s_delay_alu instid0(VALU_DEP_1) | instskip(NEXT) | instid1(VALU_DEP_1)
	v_sub_nc_u16 v144, v93, v10
	v_lshlrev_b16 v10, 5, v144
	s_delay_alu instid0(VALU_DEP_1) | instskip(NEXT) | instid1(VALU_DEP_1)
	v_and_b32_e32 v10, 0xffff, v10
	v_add_co_u32 v18, s31, s10, v10
	s_wait_alu 0xf1ff
	v_add_co_ci_u32_e64 v19, null, s11, 0, s31
	ds_load_b128 v[10:13], v116 offset:32400
	global_load_b128 v[38:41], v[18:19], off offset:2240
	v_add_f64_e32 v[64:65], v[56:57], v[60:61]
	s_wait_loadcnt_dscnt 0x0
	v_mul_f64_e32 v[20:21], v[12:13], v[40:41]
	scratch_store_b128 off, v[38:41], off offset:1584 ; 16-byte Folded Spill
	v_fma_f64 v[66:67], v[10:11], v[38:39], -v[20:21]
	v_mul_f64_e32 v[10:11], v[10:11], v[40:41]
	s_delay_alu instid0(VALU_DEP_1)
	v_fma_f64 v[68:69], v[12:13], v[38:39], v[10:11]
	global_load_b128 v[38:41], v[18:19], off offset:2256
	ds_load_b128 v[10:13], v116 offset:54000
	s_wait_loadcnt_dscnt 0x0
	v_mul_f64_e32 v[18:19], v[12:13], v[40:41]
	scratch_store_b128 off, v[38:41], off offset:1488 ; 16-byte Folded Spill
	v_fma_f64 v[70:71], v[10:11], v[38:39], -v[18:19]
	v_mul_f64_e32 v[10:11], v[10:11], v[40:41]
	s_delay_alu instid0(VALU_DEP_2) | instskip(NEXT) | instid1(VALU_DEP_2)
	v_add_f64_e32 v[74:75], v[66:67], v[70:71]
	v_fma_f64 v[72:73], v[12:13], v[38:39], v[10:11]
	v_mul_u32_u24_e32 v10, 0xda75, v14
	s_delay_alu instid0(VALU_DEP_1) | instskip(NEXT) | instid1(VALU_DEP_1)
	v_lshrrev_b32_e32 v145, 22, v10
	v_mul_lo_u16 v10, 0x96, v145
	s_delay_alu instid0(VALU_DEP_1) | instskip(NEXT) | instid1(VALU_DEP_1)
	v_sub_nc_u16 v146, v99, v10
	v_lshlrev_b16 v10, 5, v146
	s_delay_alu instid0(VALU_DEP_1) | instskip(NEXT) | instid1(VALU_DEP_1)
	v_and_b32_e32 v10, 0xffff, v10
	v_add_co_u32 v18, s31, s10, v10
	s_wait_alu 0xf1ff
	v_add_co_ci_u32_e64 v19, null, s11, 0, s31
	ds_load_b128 v[10:13], v116 offset:34560
	global_load_b128 v[38:41], v[18:19], off offset:2240
	v_add_f64_e32 v[76:77], v[68:69], v[72:73]
	s_wait_loadcnt_dscnt 0x0
	v_mul_f64_e32 v[20:21], v[12:13], v[40:41]
	scratch_store_b128 off, v[38:41], off offset:1536 ; 16-byte Folded Spill
	v_fma_f64 v[78:79], v[10:11], v[38:39], -v[20:21]
	v_mul_f64_e32 v[10:11], v[10:11], v[40:41]
	s_delay_alu instid0(VALU_DEP_1)
	v_fma_f64 v[80:81], v[12:13], v[38:39], v[10:11]
	global_load_b128 v[38:41], v[18:19], off offset:2256
	ds_load_b128 v[10:13], v116 offset:56160
	s_wait_loadcnt_dscnt 0x0
	v_mul_f64_e32 v[18:19], v[12:13], v[40:41]
	scratch_store_b128 off, v[38:41], off offset:1568 ; 16-byte Folded Spill
	v_fma_f64 v[82:83], v[10:11], v[38:39], -v[18:19]
	v_mul_f64_e32 v[10:11], v[10:11], v[40:41]
	s_delay_alu instid0(VALU_DEP_2) | instskip(NEXT) | instid1(VALU_DEP_2)
	v_add_f64_e32 v[86:87], v[78:79], v[82:83]
	v_fma_f64 v[84:85], v[12:13], v[38:39], v[10:11]
	v_mul_u32_u24_e32 v10, 0xda75, v15
	s_delay_alu instid0(VALU_DEP_1) | instskip(NEXT) | instid1(VALU_DEP_1)
	v_lshrrev_b32_e32 v147, 22, v10
	v_mul_lo_u16 v10, 0x96, v147
	s_delay_alu instid0(VALU_DEP_1) | instskip(NEXT) | instid1(VALU_DEP_1)
	v_sub_nc_u16 v148, v98, v10
	v_lshlrev_b16 v10, 5, v148
	s_delay_alu instid0(VALU_DEP_1) | instskip(NEXT) | instid1(VALU_DEP_1)
	v_and_b32_e32 v10, 0xffff, v10
	v_add_co_u32 v14, s31, s10, v10
	s_wait_alu 0xf1ff
	v_add_co_ci_u32_e64 v15, null, s11, 0, s31
	ds_load_b128 v[10:13], v116 offset:36720
	global_load_b128 v[38:41], v[14:15], off offset:2240
	v_add_f64_e32 v[88:89], v[80:81], v[84:85]
	s_wait_loadcnt_dscnt 0x0
	v_mul_f64_e32 v[18:19], v[12:13], v[40:41]
	s_delay_alu instid0(VALU_DEP_1)
	v_fma_f64 v[91:92], v[10:11], v[38:39], -v[18:19]
	global_load_b128 v[18:21], v[14:15], off offset:2256
	v_mul_f64_e32 v[10:11], v[10:11], v[40:41]
	scratch_store_b128 off, v[38:41], off offset:1520 ; 16-byte Folded Spill
	v_fma_f64 v[101:102], v[12:13], v[38:39], v[10:11]
	ds_load_b128 v[10:13], v116 offset:58320
	s_wait_loadcnt 0x0
	scratch_store_b128 off, v[18:21], off offset:1440 ; 16-byte Folded Spill
	s_wait_dscnt 0x0
	v_mul_f64_e32 v[14:15], v[12:13], v[20:21]
	s_delay_alu instid0(VALU_DEP_1) | instskip(SKIP_1) | instid1(VALU_DEP_2)
	v_fma_f64 v[103:104], v[10:11], v[18:19], -v[14:15]
	v_mul_f64_e32 v[10:11], v[10:11], v[20:21]
	v_add_f64_e32 v[107:108], v[91:92], v[103:104]
	s_delay_alu instid0(VALU_DEP_2) | instskip(SKIP_1) | instid1(VALU_DEP_1)
	v_fma_f64 v[105:106], v[12:13], v[18:19], v[10:11]
	v_mul_u32_u24_e32 v10, 0xda75, v16
	v_lshrrev_b32_e32 v149, 22, v10
	s_delay_alu instid0(VALU_DEP_1) | instskip(NEXT) | instid1(VALU_DEP_1)
	v_mul_lo_u16 v10, 0x96, v149
	v_sub_nc_u16 v150, v97, v10
	s_delay_alu instid0(VALU_DEP_1) | instskip(NEXT) | instid1(VALU_DEP_1)
	v_lshlrev_b16 v10, 5, v150
	v_and_b32_e32 v10, 0xffff, v10
	s_delay_alu instid0(VALU_DEP_1)
	v_add_co_u32 v14, s31, s10, v10
	s_wait_alu 0xf1ff
	v_add_co_ci_u32_e64 v15, null, s11, 0, s31
	ds_load_b128 v[10:13], v116 offset:38880
	global_load_b128 v[38:41], v[14:15], off offset:2240
	v_add_f64_e32 v[109:110], v[101:102], v[105:106]
	v_add_f64_e64 v[111:112], v[101:102], -v[105:106]
	s_wait_loadcnt_dscnt 0x0
	v_mul_f64_e32 v[18:19], v[12:13], v[40:41]
	s_delay_alu instid0(VALU_DEP_1) | instskip(SKIP_2) | instid1(VALU_DEP_1)
	v_fma_f64 v[113:114], v[10:11], v[38:39], -v[18:19]
	global_load_b128 v[18:21], v[14:15], off offset:2256
	v_mul_f64_e32 v[10:11], v[10:11], v[40:41]
	v_fma_f64 v[118:119], v[12:13], v[38:39], v[10:11]
	ds_load_b128 v[10:13], v116 offset:60480
	s_wait_loadcnt_dscnt 0x0
	v_mul_f64_e32 v[14:15], v[12:13], v[20:21]
	scratch_store_b128 off, v[18:21], off offset:1504 ; 16-byte Folded Spill
	v_fma_f64 v[120:121], v[10:11], v[18:19], -v[14:15]
	v_mul_f64_e32 v[10:11], v[10:11], v[20:21]
	s_delay_alu instid0(VALU_DEP_1) | instskip(SKIP_1) | instid1(VALU_DEP_1)
	v_fma_f64 v[122:123], v[12:13], v[18:19], v[10:11]
	v_mul_u32_u24_e32 v10, 0xda75, v17
	v_lshrrev_b32_e32 v10, 22, v10
	s_delay_alu instid0(VALU_DEP_1) | instskip(NEXT) | instid1(VALU_DEP_1)
	v_mul_lo_u16 v10, 0x96, v10
	v_sub_nc_u16 v151, v96, v10
	s_delay_alu instid0(VALU_DEP_1) | instskip(NEXT) | instid1(VALU_DEP_1)
	v_lshlrev_b16 v10, 5, v151
	v_and_b32_e32 v10, 0xffff, v10
	s_delay_alu instid0(VALU_DEP_1)
	v_add_co_u32 v14, s31, s10, v10
	s_wait_alu 0xf1ff
	v_add_co_ci_u32_e64 v15, null, s11, 0, s31
	ds_load_b128 v[10:13], v116 offset:41040
	global_load_b128 v[18:21], v[14:15], off offset:2240
	scratch_store_b128 off, v[50:53], off offset:1600 ; 16-byte Folded Spill
	v_add_f64_e32 v[52:53], v[44:45], v[48:49]
	v_add_f64_e32 v[50:51], v[42:43], v[46:47]
	;; [unrolled: 1-line block ×3, first 2 shown]
	v_add_f64_e64 v[126:127], v[118:119], -v[122:123]
	s_wait_loadcnt 0x0
	scratch_store_b128 off, v[18:21], off offset:1456 ; 16-byte Folded Spill
	s_wait_dscnt 0x0
	v_mul_f64_e32 v[16:17], v[12:13], v[20:21]
	s_delay_alu instid0(VALU_DEP_1) | instskip(SKIP_1) | instid1(VALU_DEP_1)
	v_fma_f64 v[130:131], v[10:11], v[18:19], -v[16:17]
	v_mul_f64_e32 v[10:11], v[10:11], v[20:21]
	v_fma_f64 v[132:133], v[12:13], v[18:19], v[10:11]
	global_load_b128 v[16:19], v[14:15], off offset:2256
	ds_load_b128 v[10:13], v116 offset:62640
	scratch_store_b128 off, v[38:41], off offset:1472 ; 16-byte Folded Spill
	v_add_f64_e32 v[40:41], v[34:35], v[36:37]
	s_wait_loadcnt 0x0
	scratch_store_b128 off, v[16:19], off offset:1424 ; 16-byte Folded Spill
	s_wait_dscnt 0x0
	v_mul_f64_e32 v[14:15], v[12:13], v[18:19]
	s_delay_alu instid0(VALU_DEP_1) | instskip(SKIP_3) | instid1(VALU_DEP_3)
	v_fma_f64 v[134:135], v[10:11], v[16:17], -v[14:15]
	v_mul_f64_e32 v[10:11], v[10:11], v[18:19]
	v_add_f64_e32 v[14:15], v[0:1], v[4:5]
	v_add_f64_e32 v[18:19], v[24:25], v[22:23]
	v_fma_f64 v[136:137], v[12:13], v[16:17], v[10:11]
	v_add_f64_e32 v[16:17], v[2:3], v[6:7]
	ds_load_b128 v[10:13], v116
	s_wait_dscnt 0x0
	v_fma_f64 v[14:15], v[14:15], -0.5, v[10:11]
	v_add_f64_e32 v[10:11], v[10:11], v[0:1]
	v_fma_f64 v[16:17], v[16:17], -0.5, v[12:13]
	v_add_f64_e32 v[12:13], v[12:13], v[2:3]
	v_add_f64_e64 v[2:3], v[2:3], -v[6:7]
	s_delay_alu instid0(VALU_DEP_4) | instskip(NEXT) | instid1(VALU_DEP_3)
	v_add_f64_e32 v[10:11], v[10:11], v[4:5]
	v_add_f64_e32 v[12:13], v[12:13], v[6:7]
	v_add_f64_e64 v[6:7], v[0:1], -v[4:5]
	s_delay_alu instid0(VALU_DEP_4) | instskip(SKIP_1) | instid1(VALU_DEP_3)
	v_fma_f64 v[0:1], v[2:3], s[12:13], v[14:15]
	v_fma_f64 v[4:5], v[2:3], s[2:3], v[14:15]
	;; [unrolled: 1-line block ×4, first 2 shown]
	ds_load_b128 v[14:17], v116 offset:2160
	s_wait_dscnt 0x0
	v_fma_f64 v[20:21], v[18:19], -0.5, v[14:15]
	v_add_f64_e32 v[18:19], v[26:27], v[28:29]
	v_add_f64_e32 v[14:15], v[14:15], v[24:25]
	v_add_f64_e64 v[24:25], v[24:25], -v[22:23]
	s_delay_alu instid0(VALU_DEP_3) | instskip(SKIP_3) | instid1(VALU_DEP_3)
	v_fma_f64 v[38:39], v[18:19], -0.5, v[16:17]
	v_add_f64_e32 v[16:17], v[16:17], v[26:27]
	v_add_f64_e64 v[26:27], v[26:27], -v[28:29]
	v_add_f64_e32 v[14:15], v[14:15], v[22:23]
	v_add_f64_e32 v[16:17], v[16:17], v[28:29]
	s_delay_alu instid0(VALU_DEP_3)
	v_fma_f64 v[18:19], v[26:27], s[12:13], v[20:21]
	v_fma_f64 v[22:23], v[26:27], s[2:3], v[20:21]
	ds_load_b128 v[26:29], v116 offset:4320
	v_fma_f64 v[20:21], v[24:25], s[2:3], v[38:39]
	v_fma_f64 v[24:25], v[24:25], s[12:13], v[38:39]
	v_add_f64_e32 v[38:39], v[32:33], v[30:31]
	s_wait_dscnt 0x0
	v_fma_f64 v[40:41], v[40:41], -0.5, v[28:29]
	v_add_f64_e32 v[28:29], v[28:29], v[34:35]
	v_add_f64_e64 v[34:35], v[34:35], -v[36:37]
	s_delay_alu instid0(VALU_DEP_4) | instskip(SKIP_1) | instid1(VALU_DEP_4)
	v_fma_f64 v[38:39], v[38:39], -0.5, v[26:27]
	v_add_f64_e32 v[26:27], v[26:27], v[32:33]
	v_add_f64_e32 v[28:29], v[28:29], v[36:37]
	v_add_f64_e64 v[36:37], v[32:33], -v[30:31]
	s_delay_alu instid0(VALU_DEP_3) | instskip(SKIP_2) | instid1(VALU_DEP_4)
	v_add_f64_e32 v[26:27], v[26:27], v[30:31]
	v_fma_f64 v[30:31], v[34:35], s[12:13], v[38:39]
	v_fma_f64 v[34:35], v[34:35], s[2:3], v[38:39]
	v_fma_f64 v[32:33], v[36:37], s[2:3], v[40:41]
	v_fma_f64 v[36:37], v[36:37], s[12:13], v[40:41]
	ds_load_b128 v[38:41], v116 offset:6480
	s_wait_dscnt 0x0
	v_fma_f64 v[52:53], v[52:53], -0.5, v[40:41]
	v_add_f64_e32 v[40:41], v[40:41], v[44:45]
	v_fma_f64 v[50:51], v[50:51], -0.5, v[38:39]
	v_add_f64_e32 v[38:39], v[38:39], v[42:43]
	v_add_f64_e64 v[44:45], v[44:45], -v[48:49]
	s_delay_alu instid0(VALU_DEP_4) | instskip(SKIP_1) | instid1(VALU_DEP_4)
	v_add_f64_e32 v[40:41], v[40:41], v[48:49]
	v_add_f64_e64 v[48:49], v[42:43], -v[46:47]
	v_add_f64_e32 v[38:39], v[38:39], v[46:47]
	s_delay_alu instid0(VALU_DEP_4) | instskip(SKIP_1) | instid1(VALU_DEP_4)
	v_fma_f64 v[42:43], v[44:45], s[12:13], v[50:51]
	v_fma_f64 v[46:47], v[44:45], s[2:3], v[50:51]
	v_fma_f64 v[44:45], v[48:49], s[2:3], v[52:53]
	v_fma_f64 v[48:49], v[48:49], s[12:13], v[52:53]
	ds_load_b128 v[50:53], v116 offset:8640
	s_wait_dscnt 0x0
	v_fma_f64 v[64:65], v[64:65], -0.5, v[52:53]
	v_add_f64_e32 v[52:53], v[52:53], v[56:57]
	v_fma_f64 v[62:63], v[62:63], -0.5, v[50:51]
	v_add_f64_e32 v[50:51], v[50:51], v[54:55]
	v_add_f64_e64 v[56:57], v[56:57], -v[60:61]
	s_delay_alu instid0(VALU_DEP_4) | instskip(SKIP_1) | instid1(VALU_DEP_4)
	v_add_f64_e32 v[52:53], v[52:53], v[60:61]
	v_add_f64_e64 v[60:61], v[54:55], -v[58:59]
	v_add_f64_e32 v[50:51], v[50:51], v[58:59]
	s_delay_alu instid0(VALU_DEP_4) | instskip(SKIP_1) | instid1(VALU_DEP_4)
	;; [unrolled: 16-line block ×4, first 2 shown]
	v_fma_f64 v[78:79], v[80:81], s[12:13], v[86:87]
	v_fma_f64 v[82:83], v[80:81], s[2:3], v[86:87]
	;; [unrolled: 1-line block ×4, first 2 shown]
	ds_load_b128 v[86:89], v116 offset:15120
	s_wait_dscnt 0x0
	v_fma_f64 v[107:108], v[107:108], -0.5, v[86:87]
	v_fma_f64 v[109:110], v[109:110], -0.5, v[88:89]
	v_add_f64_e32 v[88:89], v[88:89], v[101:102]
	v_add_f64_e32 v[86:87], v[86:87], v[91:92]
	v_add_f64_e64 v[91:92], v[91:92], -v[103:104]
	v_fma_f64 v[101:102], v[111:112], s[12:13], v[107:108]
	s_delay_alu instid0(VALU_DEP_4) | instskip(NEXT) | instid1(VALU_DEP_4)
	v_add_f64_e32 v[88:89], v[88:89], v[105:106]
	v_add_f64_e32 v[86:87], v[86:87], v[103:104]
	v_fma_f64 v[105:106], v[111:112], s[2:3], v[107:108]
	v_fma_f64 v[103:104], v[91:92], s[2:3], v[109:110]
	;; [unrolled: 1-line block ×3, first 2 shown]
	v_add_f64_e32 v[91:92], v[113:114], v[120:121]
	ds_load_b128 v[109:112], v116 offset:17280
	s_wait_dscnt 0x0
	v_fma_f64 v[124:125], v[124:125], -0.5, v[111:112]
	v_add_f64_e32 v[111:112], v[111:112], v[118:119]
	v_fma_f64 v[91:92], v[91:92], -0.5, v[109:110]
	v_add_f64_e32 v[109:110], v[109:110], v[113:114]
	v_add_f64_e64 v[113:114], v[113:114], -v[120:121]
	s_delay_alu instid0(VALU_DEP_4) | instskip(NEXT) | instid1(VALU_DEP_4)
	v_add_f64_e32 v[111:112], v[111:112], v[122:123]
	v_fma_f64 v[118:119], v[126:127], s[12:13], v[91:92]
	s_delay_alu instid0(VALU_DEP_4) | instskip(NEXT) | instid1(VALU_DEP_4)
	v_add_f64_e32 v[109:110], v[109:110], v[120:121]
	v_fma_f64 v[120:121], v[113:114], s[2:3], v[124:125]
	v_fma_f64 v[124:125], v[113:114], s[12:13], v[124:125]
	v_add_f64_e32 v[113:114], v[132:133], v[136:137]
	v_fma_f64 v[122:123], v[126:127], s[2:3], v[91:92]
	ds_load_b128 v[126:129], v116 offset:19440
	global_wb scope:SCOPE_SE
	s_wait_storecnt_dscnt 0x0
	s_barrier_signal -1
	s_barrier_wait -1
	global_inv scope:SCOPE_SE
	ds_store_b128 v116, v[10:13]
	ds_store_b128 v116, v[0:3] offset:2400
	ds_store_b128 v116, v[4:7] offset:4800
	s_wait_alu 0xfffd
	v_cndmask_b32_e64 v0, 0, 0x1c2, vcc_lo
	v_add_f64_e32 v[91:92], v[130:131], v[134:135]
	v_cmp_gt_u16_e32 vcc_lo, 45, v117
	s_delay_alu instid0(VALU_DEP_3)
	v_add_lshl_u32 v0, v90, v0, 4
	scratch_store_b32 off, v0, off offset:1420 ; 4-byte Folded Spill
	ds_store_b128 v0, v[14:17]
	ds_store_b128 v0, v[18:21] offset:2400
	ds_store_b128 v0, v[22:25] offset:4800
	v_mad_u16 v0, 0x1c2, v115, v138
	s_delay_alu instid0(VALU_DEP_1) | instskip(NEXT) | instid1(VALU_DEP_1)
	v_and_b32_e32 v0, 0xffff, v0
	v_lshlrev_b32_e32 v0, 4, v0
	scratch_store_b32 off, v0, off offset:1416 ; 4-byte Folded Spill
	ds_store_b128 v0, v[26:29]
	ds_store_b128 v0, v[30:33] offset:2400
	ds_store_b128 v0, v[34:37] offset:4800
	v_mad_u16 v0, 0x1c2, v139, v140
	v_fma_f64 v[113:114], v[113:114], -0.5, v[128:129]
	v_add_f64_e32 v[128:129], v[128:129], v[132:133]
	v_add_f64_e64 v[132:133], v[132:133], -v[136:137]
	s_delay_alu instid0(VALU_DEP_4) | instskip(NEXT) | instid1(VALU_DEP_1)
	v_and_b32_e32 v0, 0xffff, v0
	v_lshlrev_b32_e32 v0, 4, v0
	v_fma_f64 v[91:92], v[91:92], -0.5, v[126:127]
	v_add_f64_e32 v[126:127], v[126:127], v[130:131]
	scratch_store_b32 off, v0, off offset:1412 ; 4-byte Folded Spill
	ds_store_b128 v0, v[38:41]
	ds_store_b128 v0, v[42:45] offset:2400
	ds_store_b128 v0, v[46:49] offset:4800
	v_mad_u16 v0, 0x1c2, v141, v142
	s_delay_alu instid0(VALU_DEP_1) | instskip(NEXT) | instid1(VALU_DEP_1)
	v_and_b32_e32 v0, 0xffff, v0
	v_lshlrev_b32_e32 v0, 4, v0
	scratch_store_b32 off, v0, off offset:1408 ; 4-byte Folded Spill
	ds_store_b128 v0, v[50:53]
	ds_store_b128 v0, v[54:57] offset:2400
	ds_store_b128 v0, v[58:61] offset:4800
	v_mad_u16 v0, 0x1c2, v143, v144
	s_delay_alu instid0(VALU_DEP_1) | instskip(SKIP_2) | instid1(VALU_DEP_3)
	v_and_b32_e32 v0, 0xffff, v0
	v_add_f64_e32 v[128:129], v[128:129], v[136:137]
	v_add_f64_e64 v[136:137], v[130:131], -v[134:135]
	v_lshlrev_b32_e32 v0, 4, v0
	scratch_store_b32 off, v0, off offset:1404 ; 4-byte Folded Spill
	ds_store_b128 v0, v[62:65]
	ds_store_b128 v0, v[66:69] offset:2400
	ds_store_b128 v0, v[70:73] offset:4800
	v_mad_u16 v0, 0x1c2, v145, v146
	v_add_f64_e32 v[126:127], v[126:127], v[134:135]
	v_fma_f64 v[130:131], v[132:133], s[12:13], v[91:92]
	v_fma_f64 v[134:135], v[132:133], s[2:3], v[91:92]
	s_delay_alu instid0(VALU_DEP_4) | instskip(NEXT) | instid1(VALU_DEP_1)
	v_and_b32_e32 v0, 0xffff, v0
	v_lshlrev_b32_e32 v0, 4, v0
	scratch_store_b32 off, v0, off offset:1400 ; 4-byte Folded Spill
	ds_store_b128 v0, v[74:77]
	ds_store_b128 v0, v[78:81] offset:2400
	ds_store_b128 v0, v[82:85] offset:4800
	v_mad_u16 v0, 0x1c2, v147, v148
	s_delay_alu instid0(VALU_DEP_1) | instskip(NEXT) | instid1(VALU_DEP_1)
	v_and_b32_e32 v0, 0xffff, v0
	v_lshlrev_b32_e32 v0, 4, v0
	v_fma_f64 v[132:133], v[136:137], s[2:3], v[113:114]
	v_fma_f64 v[136:137], v[136:137], s[12:13], v[113:114]
	scratch_store_b32 off, v0, off offset:1396 ; 4-byte Folded Spill
	ds_store_b128 v0, v[86:89]
	ds_store_b128 v0, v[101:104] offset:2400
	ds_store_b128 v0, v[105:108] offset:4800
	v_mad_u16 v0, 0x1c2, v149, v150
	v_lshlrev_b32_e32 v102, 5, v8
	v_lshlrev_b32_e32 v101, 5, v9
	s_delay_alu instid0(VALU_DEP_3) | instskip(NEXT) | instid1(VALU_DEP_1)
	v_and_b32_e32 v0, 0xffff, v0
	v_lshlrev_b32_e32 v0, 4, v0
	scratch_store_b32 off, v0, off offset:1392 ; 4-byte Folded Spill
	ds_store_b128 v0, v[109:112]
	ds_store_b128 v0, v[118:121] offset:2400
	ds_store_b128 v0, v[122:125] offset:4800
	v_and_b32_e32 v0, 0xffff, v151
	s_delay_alu instid0(VALU_DEP_1)
	v_lshlrev_b32_e32 v0, 4, v0
	scratch_store_b32 off, v0, off offset:1388 ; 4-byte Folded Spill
	ds_store_b128 v0, v[126:129] offset:57600
	ds_store_b128 v0, v[130:133] offset:60000
	;; [unrolled: 1-line block ×3, first 2 shown]
	global_wb scope:SCOPE_SE
	s_wait_storecnt_dscnt 0x0
	s_barrier_signal -1
	s_barrier_wait -1
	global_inv scope:SCOPE_SE
	s_clause 0x3
	global_load_b128 v[10:13], v100, s[10:11] offset:7040
	global_load_b128 v[14:17], v100, s[10:11] offset:7056
	;; [unrolled: 1-line block ×4, first 2 shown]
	ds_load_b128 v[2:5], v116 offset:21600
	ds_load_b128 v[142:145], v116 offset:12960
	s_clause 0x3
	global_load_b128 v[26:29], v101, s[10:11] offset:7040
	global_load_b128 v[30:33], v101, s[10:11] offset:7056
	;; [unrolled: 1-line block ×4, first 2 shown]
	ds_load_b128 v[122:125], v116 offset:8640
	ds_load_b128 v[130:133], v116 offset:10800
	s_wait_loadcnt_dscnt 0x703
	v_mul_f64_e32 v[0:1], v[4:5], v[12:13]
	scratch_store_b128 off, v[10:13], off offset:1356 ; 16-byte Folded Spill
	s_wait_loadcnt 0x6
	scratch_store_b128 off, v[14:17], off offset:1372 ; 16-byte Folded Spill
	s_wait_loadcnt 0x5
	;; [unrolled: 2-line block ×5, first 2 shown]
	scratch_store_b128 off, v[30:33], off offset:1324 ; 16-byte Folded Spill
	v_fma_f64 v[0:1], v[2:3], v[10:11], -v[0:1]
	v_mul_f64_e32 v[2:3], v[2:3], v[12:13]
	s_delay_alu instid0(VALU_DEP_1) | instskip(SKIP_4) | instid1(VALU_DEP_2)
	v_fma_f64 v[2:3], v[4:5], v[10:11], v[2:3]
	ds_load_b128 v[10:13], v116 offset:43200
	s_wait_dscnt 0x0
	v_mul_f64_e32 v[4:5], v[12:13], v[16:17]
	v_mul_f64_e32 v[6:7], v[10:11], v[16:17]
	v_fma_f64 v[4:5], v[10:11], v[14:15], -v[4:5]
	s_delay_alu instid0(VALU_DEP_2) | instskip(SKIP_3) | instid1(VALU_DEP_1)
	v_fma_f64 v[6:7], v[12:13], v[14:15], v[6:7]
	ds_load_b128 v[14:17], v116 offset:23760
	s_wait_dscnt 0x0
	v_mul_f64_e32 v[10:11], v[16:17], v[20:21]
	v_fma_f64 v[12:13], v[14:15], v[18:19], -v[10:11]
	v_mul_f64_e32 v[10:11], v[14:15], v[20:21]
	s_delay_alu instid0(VALU_DEP_1) | instskip(SKIP_3) | instid1(VALU_DEP_1)
	v_fma_f64 v[16:17], v[16:17], v[18:19], v[10:11]
	ds_load_b128 v[18:21], v116 offset:45360
	s_wait_dscnt 0x0
	v_mul_f64_e32 v[10:11], v[20:21], v[24:25]
	v_fma_f64 v[14:15], v[18:19], v[22:23], -v[10:11]
	v_mul_f64_e32 v[10:11], v[18:19], v[24:25]
	s_delay_alu instid0(VALU_DEP_1) | instskip(SKIP_4) | instid1(VALU_DEP_2)
	v_fma_f64 v[18:19], v[20:21], v[22:23], v[10:11]
	ds_load_b128 v[8:11], v116 offset:25920
	s_wait_dscnt 0x0
	v_mul_f64_e32 v[20:21], v[10:11], v[28:29]
	v_add_f64_e64 v[108:109], v[16:17], -v[18:19]
	v_fma_f64 v[24:25], v[8:9], v[26:27], -v[20:21]
	v_mul_f64_e32 v[8:9], v[8:9], v[28:29]
	s_delay_alu instid0(VALU_DEP_1) | instskip(SKIP_3) | instid1(VALU_DEP_1)
	v_fma_f64 v[26:27], v[10:11], v[26:27], v[8:9]
	ds_load_b128 v[8:11], v116 offset:47520
	s_wait_dscnt 0x0
	v_mul_f64_e32 v[20:21], v[10:11], v[32:33]
	v_fma_f64 v[28:29], v[8:9], v[30:31], -v[20:21]
	v_mul_f64_e32 v[8:9], v[8:9], v[32:33]
	ds_load_b128 v[20:23], v116 offset:28080
	v_add_f64_e64 v[112:113], v[24:25], -v[28:29]
	v_fma_f64 v[30:31], v[10:11], v[30:31], v[8:9]
	v_add_co_u32 v8, s31, 0xffffffd3, v248
	v_add_co_ci_u32_e64 v9, null, 0, 0, s30
	s_wait_alu 0xf1ff
	v_add_co_ci_u32_e64 v10, null, 0, -1, s31
	s_wait_alu 0xfffd
	v_cndmask_b32_e32 v36, v8, v95, vcc_lo
	global_load_b128 v[248:251], v100, s[10:11] offset:14256
	v_cndmask_b32_e32 v37, v10, v9, vcc_lo
	s_delay_alu instid0(VALU_DEP_1) | instskip(NEXT) | instid1(VALU_DEP_1)
	v_lshlrev_b64_e32 v[8:9], 5, v[36:37]
	v_add_co_u32 v8, vcc_lo, s10, v8
	s_wait_alu 0xfffd
	s_delay_alu instid0(VALU_DEP_2)
	v_add_co_ci_u32_e32 v9, vcc_lo, s11, v9, vcc_lo
	v_cmp_lt_u16_e32 vcc_lo, 44, v117
	global_load_b128 v[32:35], v[8:9], off offset:7040
	v_add_f64_e32 v[110:111], v[26:27], v[30:31]
	s_wait_loadcnt_dscnt 0x0
	v_mul_f64_e32 v[10:11], v[22:23], v[34:35]
	scratch_store_b128 off, v[32:35], off offset:1712 ; 16-byte Folded Spill
	v_fma_f64 v[47:48], v[20:21], v[32:33], -v[10:11]
	v_mul_f64_e32 v[10:11], v[20:21], v[34:35]
	s_delay_alu instid0(VALU_DEP_1)
	v_fma_f64 v[51:52], v[22:23], v[32:33], v[10:11]
	global_load_b128 v[32:35], v[8:9], off offset:7056
	ds_load_b128 v[8:11], v116 offset:49680
	s_wait_loadcnt_dscnt 0x0
	v_mul_f64_e32 v[20:21], v[10:11], v[34:35]
	scratch_store_b128 off, v[32:35], off offset:1728 ; 16-byte Folded Spill
	v_fma_f64 v[79:80], v[8:9], v[32:33], -v[20:21]
	v_mul_f64_e32 v[8:9], v[8:9], v[34:35]
	s_delay_alu instid0(VALU_DEP_1)
	v_fma_f64 v[85:86], v[10:11], v[32:33], v[8:9]
	global_load_b128 v[32:35], v100, s[10:11] offset:9920
	ds_load_b128 v[8:11], v116 offset:30240
	s_wait_loadcnt_dscnt 0x0
	v_mul_f64_e32 v[20:21], v[10:11], v[34:35]
	scratch_store_b128 off, v[32:35], off offset:1744 ; 16-byte Folded Spill
	v_fma_f64 v[65:66], v[8:9], v[32:33], -v[20:21]
	v_mul_f64_e32 v[8:9], v[8:9], v[34:35]
	v_add_f64_e32 v[34:35], v[16:17], v[18:19]
	s_delay_alu instid0(VALU_DEP_2) | instskip(SKIP_4) | instid1(VALU_DEP_1)
	v_fma_f64 v[69:70], v[10:11], v[32:33], v[8:9]
	ds_load_b128 v[8:11], v116 offset:51840
	v_add_f64_e64 v[32:33], v[0:1], -v[4:5]
	s_wait_dscnt 0x0
	v_mul_f64_e32 v[20:21], v[10:11], v[245:246]
	v_fma_f64 v[89:90], v[8:9], v[243:244], -v[20:21]
	v_mul_f64_e32 v[8:9], v[8:9], v[245:246]
	s_delay_alu instid0(VALU_DEP_1) | instskip(SKIP_3) | instid1(VALU_DEP_1)
	v_fma_f64 v[91:92], v[10:11], v[243:244], v[8:9]
	ds_load_b128 v[8:11], v116 offset:32400
	s_wait_dscnt 0x0
	v_mul_f64_e32 v[20:21], v[10:11], v[254:255]
	v_fma_f64 v[37:38], v[8:9], v[252:253], -v[20:21]
	v_mul_f64_e32 v[8:9], v[8:9], v[254:255]
	s_delay_alu instid0(VALU_DEP_1) | instskip(SKIP_3) | instid1(VALU_DEP_1)
	v_fma_f64 v[41:42], v[10:11], v[252:253], v[8:9]
	ds_load_b128 v[8:11], v116 offset:54000
	s_wait_dscnt 0x0
	v_mul_f64_e32 v[20:21], v[10:11], v[250:251]
	v_fma_f64 v[55:56], v[8:9], v[248:249], -v[20:21]
	v_mul_f64_e32 v[8:9], v[8:9], v[250:251]
	s_delay_alu instid0(VALU_DEP_1) | instskip(SKIP_1) | instid1(VALU_DEP_1)
	v_fma_f64 v[61:62], v[10:11], v[248:249], v[8:9]
	v_and_b32_e32 v8, 0xffff, v99
	v_mul_u32_u24_e32 v8, 0x91a3, v8
	s_delay_alu instid0(VALU_DEP_1) | instskip(NEXT) | instid1(VALU_DEP_1)
	v_lshrrev_b32_e32 v103, 24, v8
	v_mul_lo_u16 v8, 0x1c2, v103
	s_delay_alu instid0(VALU_DEP_1) | instskip(NEXT) | instid1(VALU_DEP_1)
	v_sub_nc_u16 v104, v99, v8
	v_lshlrev_b16 v8, 5, v104
	s_delay_alu instid0(VALU_DEP_1) | instskip(NEXT) | instid1(VALU_DEP_1)
	v_and_b32_e32 v8, 0xffff, v8
	v_add_co_u32 v20, s30, s10, v8
	s_wait_alu 0xf1ff
	v_add_co_ci_u32_e64 v21, null, s11, 0, s30
	ds_load_b128 v[8:11], v116 offset:34560
	s_clause 0x1
	global_load_b128 v[239:242], v[20:21], off offset:7040
	global_load_b128 v[229:232], v[20:21], off offset:7056
	s_wait_loadcnt_dscnt 0x100
	v_mul_f64_e32 v[22:23], v[10:11], v[241:242]
	s_delay_alu instid0(VALU_DEP_1) | instskip(SKIP_1) | instid1(VALU_DEP_1)
	v_fma_f64 v[53:54], v[8:9], v[239:240], -v[22:23]
	v_mul_f64_e32 v[8:9], v[8:9], v[241:242]
	v_fma_f64 v[57:58], v[10:11], v[239:240], v[8:9]
	ds_load_b128 v[8:11], v116 offset:56160
	s_wait_loadcnt_dscnt 0x0
	v_mul_f64_e32 v[20:21], v[10:11], v[231:232]
	s_delay_alu instid0(VALU_DEP_1) | instskip(SKIP_1) | instid1(VALU_DEP_1)
	v_fma_f64 v[71:72], v[8:9], v[229:230], -v[20:21]
	v_mul_f64_e32 v[8:9], v[8:9], v[231:232]
	v_fma_f64 v[77:78], v[10:11], v[229:230], v[8:9]
	v_and_b32_e32 v8, 0xffff, v98
	s_delay_alu instid0(VALU_DEP_1) | instskip(NEXT) | instid1(VALU_DEP_1)
	v_mul_u32_u24_e32 v8, 0x91a3, v8
	v_lshrrev_b32_e32 v8, 24, v8
	s_delay_alu instid0(VALU_DEP_1) | instskip(NEXT) | instid1(VALU_DEP_1)
	v_mul_lo_u16 v8, 0x1c2, v8
	v_sub_nc_u16 v105, v98, v8
	s_delay_alu instid0(VALU_DEP_1) | instskip(NEXT) | instid1(VALU_DEP_1)
	v_lshlrev_b16 v8, 5, v105
	v_and_b32_e32 v8, 0xffff, v8
	s_delay_alu instid0(VALU_DEP_1)
	v_add_co_u32 v20, s30, s10, v8
	s_wait_alu 0xf1ff
	v_add_co_ci_u32_e64 v21, null, s11, 0, s30
	ds_load_b128 v[8:11], v116 offset:36720
	s_clause 0x1
	global_load_b128 v[225:228], v[20:21], off offset:7056
	global_load_b128 v[233:236], v[20:21], off offset:7040
	s_wait_loadcnt_dscnt 0x0
	v_mul_f64_e32 v[22:23], v[10:11], v[235:236]
	s_delay_alu instid0(VALU_DEP_1) | instskip(SKIP_1) | instid1(VALU_DEP_1)
	v_fma_f64 v[39:40], v[8:9], v[233:234], -v[22:23]
	v_mul_f64_e32 v[8:9], v[8:9], v[235:236]
	v_fma_f64 v[43:44], v[10:11], v[233:234], v[8:9]
	ds_load_b128 v[8:11], v116 offset:58320
	s_wait_dscnt 0x0
	v_mul_f64_e32 v[20:21], v[10:11], v[227:228]
	s_delay_alu instid0(VALU_DEP_1) | instskip(SKIP_1) | instid1(VALU_DEP_1)
	v_fma_f64 v[63:64], v[8:9], v[225:226], -v[20:21]
	v_mul_f64_e32 v[8:9], v[8:9], v[227:228]
	v_fma_f64 v[73:74], v[10:11], v[225:226], v[8:9]
	v_and_b32_e32 v8, 0xffff, v97
	s_delay_alu instid0(VALU_DEP_1) | instskip(NEXT) | instid1(VALU_DEP_1)
	v_mul_u32_u24_e32 v8, 0x91a3, v8
	v_lshrrev_b32_e32 v8, 24, v8
	s_delay_alu instid0(VALU_DEP_1) | instskip(NEXT) | instid1(VALU_DEP_1)
	v_mul_lo_u16 v8, 0x1c2, v8
	v_sub_nc_u16 v106, v97, v8
	s_delay_alu instid0(VALU_DEP_1) | instskip(NEXT) | instid1(VALU_DEP_1)
	v_lshlrev_b16 v8, 5, v106
	v_and_b32_e32 v8, 0xffff, v8
	s_delay_alu instid0(VALU_DEP_1)
	v_add_co_u32 v20, s30, s10, v8
	s_wait_alu 0xf1ff
	v_add_co_ci_u32_e64 v21, null, s11, 0, s30
	ds_load_b128 v[8:11], v116 offset:38880
	s_clause 0x1
	global_load_b128 v[221:224], v[20:21], off offset:7040
	global_load_b128 v[213:216], v[20:21], off offset:7056
	s_wait_loadcnt_dscnt 0x100
	v_mul_f64_e32 v[22:23], v[10:11], v[223:224]
	s_delay_alu instid0(VALU_DEP_1) | instskip(SKIP_1) | instid1(VALU_DEP_1)
	v_fma_f64 v[59:60], v[8:9], v[221:222], -v[22:23]
	v_mul_f64_e32 v[8:9], v[8:9], v[223:224]
	v_fma_f64 v[67:68], v[10:11], v[221:222], v[8:9]
	ds_load_b128 v[8:11], v116 offset:60480
	s_wait_loadcnt_dscnt 0x0
	v_mul_f64_e32 v[20:21], v[10:11], v[215:216]
	s_delay_alu instid0(VALU_DEP_1) | instskip(SKIP_1) | instid1(VALU_DEP_1)
	v_fma_f64 v[81:82], v[8:9], v[213:214], -v[20:21]
	v_mul_f64_e32 v[8:9], v[8:9], v[215:216]
	v_fma_f64 v[87:88], v[10:11], v[213:214], v[8:9]
	v_and_b32_e32 v8, 0xffff, v96
	s_delay_alu instid0(VALU_DEP_1) | instskip(NEXT) | instid1(VALU_DEP_1)
	v_mul_u32_u24_e32 v8, 0x91a3, v8
	v_lshrrev_b32_e32 v8, 24, v8
	s_delay_alu instid0(VALU_DEP_1) | instskip(NEXT) | instid1(VALU_DEP_1)
	v_mul_lo_u16 v8, 0x1c2, v8
	v_sub_nc_u16 v107, v96, v8
	s_delay_alu instid0(VALU_DEP_1) | instskip(NEXT) | instid1(VALU_DEP_1)
	v_lshlrev_b16 v8, 5, v107
	v_and_b32_e32 v8, 0xffff, v8
	s_delay_alu instid0(VALU_DEP_1)
	v_add_co_u32 v20, s30, s10, v8
	s_wait_alu 0xf1ff
	v_add_co_ci_u32_e64 v21, null, s11, 0, s30
	ds_load_b128 v[8:11], v116 offset:41040
	s_clause 0x1
	global_load_b128 v[209:212], v[20:21], off offset:7056
	global_load_b128 v[217:220], v[20:21], off offset:7040
	s_wait_loadcnt_dscnt 0x0
	v_mul_f64_e32 v[22:23], v[10:11], v[219:220]
	s_delay_alu instid0(VALU_DEP_1) | instskip(SKIP_2) | instid1(VALU_DEP_2)
	v_fma_f64 v[45:46], v[8:9], v[217:218], -v[22:23]
	v_mul_f64_e32 v[8:9], v[8:9], v[219:220]
	v_add_f64_e32 v[22:23], v[2:3], v[6:7]
	v_fma_f64 v[49:50], v[10:11], v[217:218], v[8:9]
	ds_load_b128 v[8:11], v116 offset:62640
	s_wait_dscnt 0x0
	v_mul_f64_e32 v[20:21], v[10:11], v[211:212]
	s_delay_alu instid0(VALU_DEP_1) | instskip(SKIP_2) | instid1(VALU_DEP_2)
	v_fma_f64 v[75:76], v[8:9], v[209:210], -v[20:21]
	v_mul_f64_e32 v[8:9], v[8:9], v[211:212]
	v_add_f64_e32 v[20:21], v[0:1], v[4:5]
	v_fma_f64 v[83:84], v[10:11], v[209:210], v[8:9]
	ds_load_b128 v[8:11], v116
	s_wait_dscnt 0x0
	v_fma_f64 v[20:21], v[20:21], -0.5, v[8:9]
	v_fma_f64 v[22:23], v[22:23], -0.5, v[10:11]
	v_add_f64_e32 v[10:11], v[10:11], v[2:3]
	v_add_f64_e32 v[8:9], v[8:9], v[0:1]
	v_add_f64_e64 v[2:3], v[2:3], -v[6:7]
	s_delay_alu instid0(VALU_DEP_3) | instskip(NEXT) | instid1(VALU_DEP_3)
	v_add_f64_e32 v[10:11], v[10:11], v[6:7]
	v_add_f64_e32 v[8:9], v[8:9], v[4:5]
	s_delay_alu instid0(VALU_DEP_3)
	v_fma_f64 v[4:5], v[2:3], s[12:13], v[20:21]
	v_fma_f64 v[0:1], v[2:3], s[2:3], v[20:21]
	;; [unrolled: 1-line block ×4, first 2 shown]
	v_add_f64_e32 v[32:33], v[12:13], v[14:15]
	ds_load_b128 v[20:23], v116 offset:2160
	s_wait_dscnt 0x0
	v_fma_f64 v[34:35], v[34:35], -0.5, v[22:23]
	v_add_f64_e32 v[22:23], v[22:23], v[16:17]
	v_fma_f64 v[32:33], v[32:33], -0.5, v[20:21]
	v_add_f64_e32 v[20:21], v[20:21], v[12:13]
	s_delay_alu instid0(VALU_DEP_3) | instskip(NEXT) | instid1(VALU_DEP_3)
	v_add_f64_e32 v[22:23], v[22:23], v[18:19]
	v_fma_f64 v[16:17], v[108:109], s[12:13], v[32:33]
	s_delay_alu instid0(VALU_DEP_3) | instskip(SKIP_3) | instid1(VALU_DEP_3)
	v_add_f64_e32 v[20:21], v[20:21], v[14:15]
	v_add_f64_e64 v[14:15], v[12:13], -v[14:15]
	v_fma_f64 v[12:13], v[108:109], s[2:3], v[32:33]
	v_add_f64_e32 v[108:109], v[24:25], v[28:29]
	v_fma_f64 v[18:19], v[14:15], s[2:3], v[34:35]
	v_fma_f64 v[14:15], v[14:15], s[12:13], v[34:35]
	ds_load_b128 v[32:35], v116 offset:4320
	s_wait_dscnt 0x0
	v_fma_f64 v[108:109], v[108:109], -0.5, v[32:33]
	v_fma_f64 v[110:111], v[110:111], -0.5, v[34:35]
	v_add_f64_e32 v[34:35], v[34:35], v[26:27]
	v_add_f64_e32 v[32:33], v[32:33], v[24:25]
	v_add_f64_e64 v[26:27], v[26:27], -v[30:31]
	s_delay_alu instid0(VALU_DEP_3) | instskip(NEXT) | instid1(VALU_DEP_3)
	v_add_f64_e32 v[34:35], v[34:35], v[30:31]
	v_add_f64_e32 v[32:33], v[32:33], v[28:29]
	s_delay_alu instid0(VALU_DEP_3)
	v_fma_f64 v[28:29], v[26:27], s[12:13], v[108:109]
	v_fma_f64 v[24:25], v[26:27], s[2:3], v[108:109]
	;; [unrolled: 1-line block ×4, first 2 shown]
	v_add_f64_e32 v[112:113], v[47:48], v[79:80]
	ds_load_b128 v[108:111], v116 offset:6480
	s_wait_dscnt 0x0
	v_fma_f64 v[114:115], v[112:113], -0.5, v[108:109]
	v_add_f64_e32 v[112:113], v[51:52], v[85:86]
	v_add_f64_e32 v[108:109], v[108:109], v[47:48]
	v_add_f64_e64 v[47:48], v[47:48], -v[79:80]
	s_delay_alu instid0(VALU_DEP_3) | instskip(SKIP_4) | instid1(VALU_DEP_4)
	v_fma_f64 v[120:121], v[112:113], -0.5, v[110:111]
	v_add_f64_e32 v[110:111], v[110:111], v[51:52]
	v_add_f64_e64 v[51:52], v[51:52], -v[85:86]
	v_add_f64_e32 v[108:109], v[108:109], v[79:80]
	v_add_f64_e32 v[79:80], v[124:125], v[69:70]
	v_add_f64_e32 v[110:111], v[110:111], v[85:86]
	s_delay_alu instid0(VALU_DEP_4)
	v_fma_f64 v[112:113], v[51:52], s[12:13], v[114:115]
	v_fma_f64 v[118:119], v[51:52], s[2:3], v[114:115]
	v_add_f64_e32 v[51:52], v[69:70], v[91:92]
	v_fma_f64 v[114:115], v[47:48], s[2:3], v[120:121]
	v_fma_f64 v[120:121], v[47:48], s[12:13], v[120:121]
	v_add_f64_e32 v[47:48], v[65:66], v[89:90]
	v_add_f64_e32 v[85:86], v[122:123], v[65:66]
	v_add_f64_e64 v[65:66], v[65:66], -v[89:90]
	v_add_f64_e64 v[69:70], v[69:70], -v[91:92]
	v_fma_f64 v[51:52], v[51:52], -0.5, v[124:125]
	v_add_f64_e32 v[124:125], v[79:80], v[91:92]
	v_fma_f64 v[47:48], v[47:48], -0.5, v[122:123]
	v_add_f64_e32 v[122:123], v[85:86], v[89:90]
	s_delay_alu instid0(VALU_DEP_4)
	v_fma_f64 v[91:92], v[65:66], s[2:3], v[51:52]
	v_fma_f64 v[128:129], v[65:66], s[12:13], v[51:52]
	v_add_f64_e32 v[51:52], v[41:42], v[61:62]
	v_fma_f64 v[89:90], v[69:70], s[12:13], v[47:48]
	v_fma_f64 v[126:127], v[69:70], s[2:3], v[47:48]
	v_add_f64_e32 v[47:48], v[37:38], v[55:56]
	v_add_f64_e32 v[69:70], v[130:131], v[37:38]
	v_add_f64_e64 v[37:38], v[37:38], -v[55:56]
	v_add_f64_e32 v[65:66], v[132:133], v[41:42]
	v_add_f64_e64 v[41:42], v[41:42], -v[61:62]
	v_fma_f64 v[51:52], v[51:52], -0.5, v[132:133]
	v_fma_f64 v[47:48], v[47:48], -0.5, v[130:131]
	v_add_f64_e32 v[130:131], v[69:70], v[55:56]
	v_add_f64_e32 v[132:133], v[65:66], v[61:62]
	v_add_f64_e64 v[61:62], v[57:58], -v[77:78]
	v_fma_f64 v[136:137], v[37:38], s[2:3], v[51:52]
	v_fma_f64 v[140:141], v[37:38], s[12:13], v[51:52]
	v_add_f64_e32 v[37:38], v[53:54], v[71:72]
	v_fma_f64 v[134:135], v[41:42], s[12:13], v[47:48]
	v_fma_f64 v[138:139], v[41:42], s[2:3], v[47:48]
	v_add_f64_e32 v[41:42], v[57:58], v[77:78]
	v_add_f64_e32 v[47:48], v[144:145], v[57:58]
	;; [unrolled: 1-line block ×3, first 2 shown]
	v_fma_f64 v[37:38], v[37:38], -0.5, v[142:143]
	s_delay_alu instid0(VALU_DEP_4) | instskip(NEXT) | instid1(VALU_DEP_4)
	v_fma_f64 v[41:42], v[41:42], -0.5, v[144:145]
	v_add_f64_e32 v[57:58], v[47:48], v[77:78]
	s_delay_alu instid0(VALU_DEP_4)
	v_add_f64_e32 v[55:56], v[51:52], v[71:72]
	v_add_f64_e64 v[47:48], v[53:54], -v[71:72]
	ds_load_b128 v[77:80], v116 offset:15120
	ds_load_b128 v[142:145], v116 offset:19440
	v_fma_f64 v[51:52], v[61:62], s[12:13], v[37:38]
	v_fma_f64 v[69:70], v[61:62], s[2:3], v[37:38]
	v_add_f64_e32 v[37:38], v[39:40], v[63:64]
	v_add_f64_e64 v[61:62], v[43:44], -v[73:74]
	v_fma_f64 v[53:54], v[47:48], s[2:3], v[41:42]
	v_fma_f64 v[71:72], v[47:48], s[12:13], v[41:42]
	s_wait_dscnt 0x1
	v_add_f64_e32 v[41:42], v[77:78], v[39:40]
	v_fma_f64 v[47:48], v[37:38], -0.5, v[77:78]
	v_add_f64_e32 v[37:38], v[43:44], v[73:74]
	s_delay_alu instid0(VALU_DEP_3) | instskip(SKIP_1) | instid1(VALU_DEP_3)
	v_add_f64_e32 v[41:42], v[41:42], v[63:64]
	v_add_f64_e64 v[63:64], v[39:40], -v[63:64]
	v_fma_f64 v[65:66], v[37:38], -0.5, v[79:80]
	v_add_f64_e32 v[37:38], v[79:80], v[43:44]
	ds_load_b128 v[77:80], v116 offset:17280
	global_wb scope:SCOPE_SE
	s_wait_storecnt_dscnt 0x0
	s_barrier_signal -1
	s_barrier_wait -1
	global_inv scope:SCOPE_SE
	ds_store_b128 v116, v[8:11]
	ds_store_b128 v116, v[20:23] offset:2160
	ds_store_b128 v116, v[32:35] offset:4320
	;; [unrolled: 1-line block ×8, first 2 shown]
	s_wait_alu 0xfffd
	v_cndmask_b32_e64 v0, 0, 0x546, vcc_lo
	v_lshlrev_b32_e32 v32, 5, v95
	s_delay_alu instid0(VALU_DEP_2)
	v_add_lshl_u32 v0, v36, v0, 4
	scratch_store_b32 off, v0, off offset:1776 ; 4-byte Folded Spill
	ds_store_b128 v0, v[108:111]
	ds_store_b128 v0, v[112:115] offset:7200
	ds_store_b128 v0, v[118:121] offset:14400
	;; [unrolled: 1-line block ×8, first 2 shown]
	v_mad_u16 v0, 0x546, v103, v104
	s_delay_alu instid0(VALU_DEP_1) | instskip(NEXT) | instid1(VALU_DEP_1)
	v_and_b32_e32 v0, 0xffff, v0
	v_lshlrev_b32_e32 v0, 4, v0
	scratch_store_b32 off, v0, off offset:1772 ; 4-byte Folded Spill
	ds_store_b128 v0, v[55:58]
	ds_store_b128 v0, v[51:54] offset:7200
	ds_store_b128 v0, v[69:72] offset:14400
	v_and_b32_e32 v0, 0xffff, v105
	v_fma_f64 v[39:40], v[63:64], s[2:3], v[65:66]
	v_add_f64_e32 v[43:44], v[37:38], v[73:74]
	v_fma_f64 v[37:38], v[61:62], s[12:13], v[47:48]
	v_fma_f64 v[61:62], v[61:62], s[2:3], v[47:48]
	;; [unrolled: 1-line block ×3, first 2 shown]
	v_add_f64_e32 v[47:48], v[59:60], v[81:82]
	v_add_f64_e32 v[65:66], v[67:68], v[87:88]
	v_lshlrev_b32_e32 v0, 4, v0
	scratch_store_b32 off, v0, off offset:1768 ; 4-byte Folded Spill
	ds_store_b128 v0, v[41:44] offset:43200
	ds_store_b128 v0, v[37:40] offset:50400
	;; [unrolled: 1-line block ×3, first 2 shown]
	v_and_b32_e32 v0, 0xffff, v106
	v_lshlrev_b32_e32 v38, 5, v94
	v_fma_f64 v[47:48], v[47:48], -0.5, v[77:78]
	v_fma_f64 v[73:74], v[65:66], -0.5, v[79:80]
	v_add_f64_e32 v[65:66], v[79:80], v[67:68]
	v_add_f64_e32 v[77:78], v[77:78], v[59:60]
	v_add_f64_e64 v[79:80], v[67:68], -v[87:88]
	v_add_f64_e64 v[59:60], v[59:60], -v[81:82]
	v_lshlrev_b32_e32 v0, 4, v0
	scratch_store_b32 off, v0, off offset:1764 ; 4-byte Folded Spill
	v_add_f64_e32 v[67:68], v[65:66], v[87:88]
	v_add_f64_e32 v[65:66], v[77:78], v[81:82]
	v_fma_f64 v[77:78], v[79:80], s[12:13], v[47:48]
	v_fma_f64 v[85:86], v[79:80], s[2:3], v[47:48]
	v_add_f64_e32 v[47:48], v[45:46], v[75:76]
	v_fma_f64 v[79:80], v[59:60], s[2:3], v[73:74]
	v_fma_f64 v[87:88], v[59:60], s[12:13], v[73:74]
	v_add_f64_e32 v[73:74], v[142:143], v[45:46]
	v_add_f64_e64 v[81:82], v[49:50], -v[83:84]
	v_add_f64_e64 v[45:46], v[45:46], -v[75:76]
	ds_store_b128 v0, v[65:68] offset:43200
	ds_store_b128 v0, v[77:80] offset:50400
	;; [unrolled: 1-line block ×3, first 2 shown]
	v_fma_f64 v[59:60], v[47:48], -0.5, v[142:143]
	v_add_f64_e32 v[47:48], v[49:50], v[83:84]
	v_and_b32_e32 v0, 0xffff, v107
	s_delay_alu instid0(VALU_DEP_1) | instskip(SKIP_3) | instid1(VALU_DEP_1)
	v_lshlrev_b32_e32 v0, 4, v0
	scratch_store_b32 off, v0, off offset:1760 ; 4-byte Folded Spill
	v_fma_f64 v[146:147], v[47:48], -0.5, v[144:145]
	v_add_f64_e32 v[47:48], v[144:145], v[49:50]
	v_add_f64_e32 v[49:50], v[47:48], v[83:84]
	;; [unrolled: 1-line block ×3, first 2 shown]
	v_fma_f64 v[73:74], v[81:82], s[12:13], v[59:60]
	v_fma_f64 v[75:76], v[45:46], s[2:3], v[146:147]
	;; [unrolled: 1-line block ×4, first 2 shown]
	ds_store_b128 v0, v[47:50] offset:43200
	ds_store_b128 v0, v[73:76] offset:50400
	;; [unrolled: 1-line block ×3, first 2 shown]
	global_wb scope:SCOPE_SE
	s_wait_storecnt_dscnt 0x0
	s_barrier_signal -1
	s_barrier_wait -1
	global_inv scope:SCOPE_SE
	s_clause 0x3
	global_load_b128 v[133:136], v100, s[10:11] offset:21440
	global_load_b128 v[129:132], v100, s[10:11] offset:21456
	;; [unrolled: 1-line block ×4, first 2 shown]
	ds_load_b128 v[2:5], v116 offset:21600
	s_clause 0x5
	global_load_b128 v[193:196], v101, s[10:11] offset:21440
	global_load_b128 v[185:188], v101, s[10:11] offset:21456
	;; [unrolled: 1-line block ×6, first 2 shown]
	v_lshlrev_b32_e32 v38, 5, v93
	ds_load_b128 v[108:111], v116 offset:12960
	ds_load_b128 v[117:120], v116 offset:15120
	s_clause 0x1
	global_load_b128 v[173:176], v38, s[10:11] offset:21440
	global_load_b128 v[181:184], v38, s[10:11] offset:21456
	v_lshlrev_b32_e32 v38, 5, v99
	s_clause 0x1
	global_load_b128 v[161:164], v38, s[10:11] offset:21440
	global_load_b128 v[153:156], v38, s[10:11] offset:21456
	v_lshlrev_b32_e32 v38, 5, v98
	s_clause 0x1
	global_load_b128 v[165:168], v38, s[10:11] offset:21456
	global_load_b128 v[157:160], v38, s[10:11] offset:21440
	v_lshlrev_b32_e32 v38, 5, v97
	s_clause 0x1
	global_load_b128 v[145:148], v38, s[10:11] offset:21440
	global_load_b128 v[137:140], v38, s[10:11] offset:21456
	v_lshlrev_b32_e32 v38, 5, v96
	s_clause 0x1
	global_load_b128 v[149:152], v38, s[10:11] offset:21456
	global_load_b128 v[141:144], v38, s[10:11] offset:21440
	s_wait_loadcnt_dscnt 0x1302
	v_mul_f64_e32 v[0:1], v[4:5], v[135:136]
	s_delay_alu instid0(VALU_DEP_1) | instskip(SKIP_1) | instid1(VALU_DEP_1)
	v_fma_f64 v[0:1], v[2:3], v[133:134], -v[0:1]
	v_mul_f64_e32 v[2:3], v[2:3], v[135:136]
	v_fma_f64 v[6:7], v[4:5], v[133:134], v[2:3]
	ds_load_b128 v[2:5], v116 offset:43200
	s_wait_loadcnt_dscnt 0x1200
	v_mul_f64_e32 v[8:9], v[4:5], v[131:132]
	s_delay_alu instid0(VALU_DEP_1) | instskip(SKIP_1) | instid1(VALU_DEP_1)
	v_fma_f64 v[36:37], v[2:3], v[129:130], -v[8:9]
	v_mul_f64_e32 v[2:3], v[2:3], v[131:132]
	v_fma_f64 v[24:25], v[4:5], v[129:130], v[2:3]
	ds_load_b128 v[2:5], v116 offset:23760
	;; [unrolled: 7-line block ×5, first 2 shown]
	s_wait_loadcnt_dscnt 0xe00
	v_mul_f64_e32 v[20:21], v[4:5], v[187:188]
	s_delay_alu instid0(VALU_DEP_1) | instskip(SKIP_1) | instid1(VALU_DEP_2)
	v_fma_f64 v[20:21], v[2:3], v[185:186], -v[20:21]
	v_mul_f64_e32 v[2:3], v[2:3], v[187:188]
	v_add_f64_e64 v[92:93], v[16:17], -v[20:21]
	s_delay_alu instid0(VALU_DEP_2) | instskip(SKIP_3) | instid1(VALU_DEP_1)
	v_fma_f64 v[22:23], v[4:5], v[185:186], v[2:3]
	ds_load_b128 v[2:5], v116 offset:28080
	s_wait_loadcnt_dscnt 0xd00
	v_mul_f64_e32 v[26:27], v[4:5], v[191:192]
	v_fma_f64 v[28:29], v[2:3], v[189:190], -v[26:27]
	v_mul_f64_e32 v[2:3], v[2:3], v[191:192]
	s_delay_alu instid0(VALU_DEP_1) | instskip(SKIP_3) | instid1(VALU_DEP_1)
	v_fma_f64 v[30:31], v[4:5], v[189:190], v[2:3]
	ds_load_b128 v[2:5], v116 offset:49680
	s_wait_loadcnt_dscnt 0xc00
	v_mul_f64_e32 v[26:27], v[4:5], v[199:200]
	v_fma_f64 v[32:33], v[2:3], v[197:198], -v[26:27]
	v_mul_f64_e32 v[2:3], v[2:3], v[199:200]
	s_delay_alu instid0(VALU_DEP_2) | instskip(NEXT) | instid1(VALU_DEP_2)
	v_add_f64_e64 v[96:97], v[28:29], -v[32:33]
	v_fma_f64 v[34:35], v[4:5], v[197:198], v[2:3]
	ds_load_b128 v[2:5], v116 offset:30240
	s_wait_loadcnt_dscnt 0xb00
	v_mul_f64_e32 v[26:27], v[4:5], v[179:180]
	s_delay_alu instid0(VALU_DEP_1) | instskip(SKIP_1) | instid1(VALU_DEP_1)
	v_fma_f64 v[44:45], v[2:3], v[177:178], -v[26:27]
	v_mul_f64_e32 v[2:3], v[2:3], v[179:180]
	v_fma_f64 v[46:47], v[4:5], v[177:178], v[2:3]
	ds_load_b128 v[2:5], v116 offset:51840
	s_wait_loadcnt_dscnt 0xa00
	v_mul_f64_e32 v[26:27], v[4:5], v[171:172]
	s_delay_alu instid0(VALU_DEP_1) | instskip(SKIP_1) | instid1(VALU_DEP_2)
	v_fma_f64 v[48:49], v[2:3], v[169:170], -v[26:27]
	v_mul_f64_e32 v[2:3], v[2:3], v[171:172]
	v_add_f64_e64 v[100:101], v[44:45], -v[48:49]
	s_delay_alu instid0(VALU_DEP_2) | instskip(SKIP_3) | instid1(VALU_DEP_1)
	v_fma_f64 v[50:51], v[4:5], v[169:170], v[2:3]
	ds_load_b128 v[2:5], v116 offset:32400
	s_wait_loadcnt_dscnt 0x900
	v_mul_f64_e32 v[26:27], v[4:5], v[175:176]
	v_fma_f64 v[62:63], v[2:3], v[173:174], -v[26:27]
	v_mul_f64_e32 v[2:3], v[2:3], v[175:176]
	s_delay_alu instid0(VALU_DEP_1) | instskip(SKIP_3) | instid1(VALU_DEP_1)
	v_fma_f64 v[70:71], v[4:5], v[173:174], v[2:3]
	ds_load_b128 v[2:5], v116 offset:54000
	s_wait_loadcnt_dscnt 0x800
	v_mul_f64_e32 v[26:27], v[4:5], v[183:184]
	v_fma_f64 v[84:85], v[2:3], v[181:182], -v[26:27]
	v_mul_f64_e32 v[2:3], v[2:3], v[183:184]
	s_delay_alu instid0(VALU_DEP_1) | instskip(SKIP_3) | instid1(VALU_DEP_1)
	;; [unrolled: 7-line block ×5, first 2 shown]
	v_fma_f64 v[58:59], v[4:5], v[157:158], v[2:3]
	ds_load_b128 v[2:5], v116 offset:58320
	s_wait_dscnt 0x0
	v_mul_f64_e32 v[26:27], v[4:5], v[167:168]
	v_fma_f64 v[72:73], v[2:3], v[165:166], -v[26:27]
	v_mul_f64_e32 v[2:3], v[2:3], v[167:168]
	s_delay_alu instid0(VALU_DEP_1) | instskip(SKIP_3) | instid1(VALU_DEP_1)
	v_fma_f64 v[74:75], v[4:5], v[165:166], v[2:3]
	ds_load_b128 v[2:5], v116 offset:38880
	s_wait_loadcnt_dscnt 0x300
	v_mul_f64_e32 v[26:27], v[4:5], v[147:148]
	v_fma_f64 v[66:67], v[2:3], v[145:146], -v[26:27]
	v_mul_f64_e32 v[2:3], v[2:3], v[147:148]
	s_delay_alu instid0(VALU_DEP_1) | instskip(SKIP_3) | instid1(VALU_DEP_1)
	v_fma_f64 v[68:69], v[4:5], v[145:146], v[2:3]
	ds_load_b128 v[2:5], v116 offset:60480
	s_wait_loadcnt_dscnt 0x200
	;; [unrolled: 7-line block ×3, first 2 shown]
	v_mul_f64_e32 v[26:27], v[4:5], v[143:144]
	v_fma_f64 v[52:53], v[2:3], v[141:142], -v[26:27]
	v_mul_f64_e32 v[2:3], v[2:3], v[143:144]
	s_delay_alu instid0(VALU_DEP_1) | instskip(SKIP_3) | instid1(VALU_DEP_1)
	v_fma_f64 v[54:55], v[4:5], v[141:142], v[2:3]
	ds_load_b128 v[2:5], v116 offset:62640
	s_wait_dscnt 0x0
	v_mul_f64_e32 v[26:27], v[4:5], v[151:152]
	v_fma_f64 v[60:61], v[2:3], v[149:150], -v[26:27]
	v_mul_f64_e32 v[2:3], v[2:3], v[151:152]
	v_add_f64_e32 v[26:27], v[0:1], v[36:37]
	s_delay_alu instid0(VALU_DEP_2)
	v_fma_f64 v[64:65], v[4:5], v[149:150], v[2:3]
	ds_load_b128 v[2:5], v116
	s_wait_dscnt 0x0
	v_fma_f64 v[38:39], v[26:27], -0.5, v[2:3]
	v_add_f64_e32 v[26:27], v[6:7], v[24:25]
	v_add_f64_e32 v[2:3], v[2:3], v[0:1]
	v_add_f64_e64 v[0:1], v[0:1], -v[36:37]
	s_delay_alu instid0(VALU_DEP_3) | instskip(SKIP_2) | instid1(VALU_DEP_3)
	v_fma_f64 v[40:41], v[26:27], -0.5, v[4:5]
	v_add_f64_e32 v[4:5], v[4:5], v[6:7]
	v_add_f64_e64 v[6:7], v[6:7], -v[24:25]
	v_fma_f64 v[123:124], v[0:1], s[12:13], v[40:41]
	s_delay_alu instid0(VALU_DEP_3) | instskip(SKIP_1) | instid1(VALU_DEP_4)
	v_add_f64_e32 v[26:27], v[4:5], v[24:25]
	v_add_f64_e32 v[24:25], v[2:3], v[36:37]
	v_fma_f64 v[4:5], v[6:7], s[12:13], v[38:39]
	v_fma_f64 v[121:122], v[6:7], s[2:3], v[38:39]
	;; [unrolled: 1-line block ×3, first 2 shown]
	v_add_f64_e32 v[0:1], v[8:9], v[12:13]
	v_add_f64_e32 v[2:3], v[10:11], v[14:15]
	ds_load_b128 v[36:39], v116 offset:2160
	v_add_f64_e64 v[40:41], v[8:9], -v[12:13]
	s_wait_dscnt 0x0
	v_fma_f64 v[0:1], v[0:1], -0.5, v[36:37]
	v_fma_f64 v[2:3], v[2:3], -0.5, v[38:39]
	v_add_f64_e32 v[38:39], v[38:39], v[10:11]
	v_add_f64_e32 v[36:37], v[36:37], v[8:9]
	v_add_f64_e64 v[10:11], v[10:11], -v[14:15]
	s_delay_alu instid0(VALU_DEP_3) | instskip(NEXT) | instid1(VALU_DEP_3)
	v_add_f64_e32 v[38:39], v[38:39], v[14:15]
	v_add_f64_e32 v[36:37], v[36:37], v[12:13]
	s_delay_alu instid0(VALU_DEP_3)
	v_fma_f64 v[12:13], v[10:11], s[12:13], v[0:1]
	v_fma_f64 v[8:9], v[10:11], s[2:3], v[0:1]
	v_fma_f64 v[14:15], v[40:41], s[2:3], v[2:3]
	v_fma_f64 v[10:11], v[40:41], s[12:13], v[2:3]
	v_add_f64_e32 v[0:1], v[16:17], v[20:21]
	v_add_f64_e32 v[2:3], v[18:19], v[22:23]
	ds_load_b128 v[40:43], v116 offset:4320
	s_wait_dscnt 0x0
	v_fma_f64 v[0:1], v[0:1], -0.5, v[40:41]
	v_fma_f64 v[2:3], v[2:3], -0.5, v[42:43]
	v_add_f64_e32 v[42:43], v[42:43], v[18:19]
	v_add_f64_e32 v[40:41], v[40:41], v[16:17]
	v_add_f64_e64 v[18:19], v[18:19], -v[22:23]
	s_delay_alu instid0(VALU_DEP_3) | instskip(NEXT) | instid1(VALU_DEP_3)
	v_add_f64_e32 v[42:43], v[42:43], v[22:23]
	v_add_f64_e32 v[40:41], v[40:41], v[20:21]
	s_delay_alu instid0(VALU_DEP_3)
	v_fma_f64 v[20:21], v[18:19], s[12:13], v[0:1]
	v_fma_f64 v[16:17], v[18:19], s[2:3], v[0:1]
	v_fma_f64 v[22:23], v[92:93], s[2:3], v[2:3]
	v_fma_f64 v[18:19], v[92:93], s[12:13], v[2:3]
	v_add_f64_e32 v[0:1], v[28:29], v[32:33]
	v_add_f64_e32 v[2:3], v[30:31], v[34:35]
	ds_load_b128 v[92:95], v116 offset:6480
	;; [unrolled: 17-line block ×4, first 2 shown]
	s_wait_dscnt 0x0
	v_fma_f64 v[0:1], v[0:1], -0.5, v[100:101]
	v_fma_f64 v[2:3], v[2:3], -0.5, v[102:103]
	v_add_f64_e32 v[102:103], v[102:103], v[70:71]
	v_add_f64_e32 v[100:101], v[100:101], v[62:63]
	v_add_f64_e64 v[70:71], v[70:71], -v[86:87]
	v_add_f64_e64 v[62:63], v[62:63], -v[84:85]
	s_delay_alu instid0(VALU_DEP_4) | instskip(NEXT) | instid1(VALU_DEP_4)
	v_add_f64_e32 v[102:103], v[102:103], v[86:87]
	v_add_f64_e32 v[100:101], v[100:101], v[84:85]
	s_delay_alu instid0(VALU_DEP_4)
	v_fma_f64 v[84:85], v[70:71], s[12:13], v[0:1]
	v_fma_f64 v[104:105], v[70:71], s[2:3], v[0:1]
	;; [unrolled: 1-line block ×4, first 2 shown]
	v_add_f64_e32 v[0:1], v[76:77], v[88:89]
	v_add_f64_e32 v[2:3], v[80:81], v[90:91]
	;; [unrolled: 1-line block ×4, first 2 shown]
	v_add_f64_e64 v[80:81], v[80:81], -v[90:91]
	v_fma_f64 v[0:1], v[0:1], -0.5, v[108:109]
	v_fma_f64 v[2:3], v[2:3], -0.5, v[110:111]
	v_add_f64_e32 v[110:111], v[62:63], v[90:91]
	v_add_f64_e64 v[62:63], v[76:77], -v[88:89]
	v_add_f64_e32 v[108:109], v[70:71], v[88:89]
	v_add_f64_e32 v[70:71], v[117:118], v[56:57]
	v_fma_f64 v[88:89], v[80:81], s[12:13], v[0:1]
	v_fma_f64 v[112:113], v[80:81], s[2:3], v[0:1]
	v_add_f64_e32 v[0:1], v[56:57], v[72:73]
	v_fma_f64 v[90:91], v[62:63], s[2:3], v[2:3]
	v_fma_f64 v[114:115], v[62:63], s[12:13], v[2:3]
	v_add_f64_e32 v[2:3], v[58:59], v[74:75]
	v_add_f64_e32 v[62:63], v[119:120], v[58:59]
	v_add_f64_e64 v[58:59], v[58:59], -v[74:75]
	v_fma_f64 v[0:1], v[0:1], -0.5, v[117:118]
	s_delay_alu instid0(VALU_DEP_4) | instskip(NEXT) | instid1(VALU_DEP_4)
	v_fma_f64 v[2:3], v[2:3], -0.5, v[119:120]
	v_add_f64_e32 v[76:77], v[62:63], v[74:75]
	v_add_f64_e64 v[62:63], v[56:57], -v[72:73]
	ds_load_b128 v[117:120], v116 offset:17280
	v_add_f64_e32 v[74:75], v[70:71], v[72:73]
	s_wait_dscnt 0x0
	v_add_f64_e32 v[80:81], v[117:118], v[66:67]
	v_fma_f64 v[56:57], v[58:59], s[12:13], v[0:1]
	v_fma_f64 v[70:71], v[58:59], s[2:3], v[0:1]
	v_add_f64_e32 v[0:1], v[66:67], v[78:79]
	v_fma_f64 v[58:59], v[62:63], s[2:3], v[2:3]
	v_fma_f64 v[72:73], v[62:63], s[12:13], v[2:3]
	v_add_f64_e32 v[2:3], v[68:69], v[82:83]
	v_add_f64_e32 v[62:63], v[119:120], v[68:69]
	v_add_f64_e64 v[68:69], v[68:69], -v[82:83]
	v_add_f64_e32 v[80:81], v[80:81], v[78:79]
	v_fma_f64 v[0:1], v[0:1], -0.5, v[117:118]
	v_fma_f64 v[2:3], v[2:3], -0.5, v[119:120]
	v_add_f64_e32 v[82:83], v[62:63], v[82:83]
	v_add_f64_e64 v[62:63], v[66:67], -v[78:79]
	v_add_f64_e32 v[78:79], v[54:55], v[64:65]
	v_fma_f64 v[66:67], v[68:69], s[12:13], v[0:1]
	v_fma_f64 v[117:118], v[68:69], s[2:3], v[0:1]
	s_delay_alu instid0(VALU_DEP_4)
	v_fma_f64 v[68:69], v[62:63], s[2:3], v[2:3]
	v_fma_f64 v[119:120], v[62:63], s[12:13], v[2:3]
	ds_load_b128 v[0:3], v116 offset:19440
	v_add_f64_e32 v[62:63], v[52:53], v[60:61]
	s_wait_dscnt 0x0
	v_fma_f64 v[78:79], v[78:79], -0.5, v[2:3]
	v_add_f64_e32 v[2:3], v[2:3], v[54:55]
	v_add_f64_e64 v[54:55], v[54:55], -v[64:65]
	s_delay_alu instid0(VALU_DEP_4) | instskip(SKIP_1) | instid1(VALU_DEP_4)
	v_fma_f64 v[62:63], v[62:63], -0.5, v[0:1]
	v_add_f64_e32 v[0:1], v[0:1], v[52:53]
	v_add_f64_e32 v[2:3], v[2:3], v[64:65]
	v_add_f64_e64 v[64:65], v[52:53], -v[60:61]
	s_delay_alu instid0(VALU_DEP_4) | instskip(NEXT) | instid1(VALU_DEP_4)
	v_fma_f64 v[52:53], v[54:55], s[12:13], v[62:63]
	v_add_f64_e32 v[0:1], v[0:1], v[60:61]
	v_fma_f64 v[60:61], v[54:55], s[2:3], v[62:63]
	s_delay_alu instid0(VALU_DEP_4)
	v_fma_f64 v[54:55], v[64:65], s[2:3], v[78:79]
	v_fma_f64 v[62:63], v[64:65], s[12:13], v[78:79]
	ds_store_b128 v116, v[24:27]
	ds_store_b128 v116, v[36:39] offset:2160
	ds_store_b128 v116, v[40:43] offset:4320
	;; [unrolled: 1-line block ×29, first 2 shown]
	global_wb scope:SCOPE_SE
	s_wait_dscnt 0x0
	s_barrier_signal -1
	s_barrier_wait -1
	global_inv scope:SCOPE_SE
	global_load_b128 v[0:3], v116, s[8:9] offset:64800
	ds_load_b128 v[4:7], v116
	s_add_nc_u64 s[8:9], s[8:9], 0xfd20
	s_wait_loadcnt_dscnt 0x0
	v_mul_f64_e32 v[8:9], v[6:7], v[2:3]
	v_mul_f64_e32 v[2:3], v[4:5], v[2:3]
	s_delay_alu instid0(VALU_DEP_2) | instskip(NEXT) | instid1(VALU_DEP_2)
	v_fma_f64 v[125:126], v[4:5], v[0:1], -v[8:9]
	v_fma_f64 v[127:128], v[6:7], v[0:1], v[2:3]
	global_load_b128 v[0:3], v116, s[8:9] offset:6480
	ds_load_b128 v[4:7], v116 offset:6480
	s_wait_loadcnt_dscnt 0x0
	v_mul_f64_e32 v[8:9], v[6:7], v[2:3]
	v_mul_f64_e32 v[2:3], v[4:5], v[2:3]
	s_delay_alu instid0(VALU_DEP_2) | instskip(NEXT) | instid1(VALU_DEP_2)
	v_fma_f64 v[112:113], v[4:5], v[0:1], -v[8:9]
	v_fma_f64 v[114:115], v[6:7], v[0:1], v[2:3]
	global_load_b128 v[0:3], v116, s[8:9] offset:12960
	ds_load_b128 v[4:7], v116 offset:12960
	;; [unrolled: 8-line block ×27, first 2 shown]
	s_wait_loadcnt_dscnt 0x0
	v_mul_f64_e32 v[117:118], v[6:7], v[2:3]
	v_mul_f64_e32 v[2:3], v[4:5], v[2:3]
	s_delay_alu instid0(VALU_DEP_2)
	v_fma_f64 v[8:9], v[4:5], v[0:1], -v[117:118]
	global_load_b128 v[117:120], v116, s[8:9] offset:56160
	v_fma_f64 v[10:11], v[6:7], v[0:1], v[2:3]
	ds_load_b128 v[0:3], v116 offset:56160
	s_wait_loadcnt_dscnt 0x0
	v_mul_f64_e32 v[121:122], v[2:3], v[119:120]
	v_mul_f64_e32 v[119:120], v[0:1], v[119:120]
	s_delay_alu instid0(VALU_DEP_2) | instskip(NEXT) | instid1(VALU_DEP_2)
	v_fma_f64 v[4:5], v[0:1], v[117:118], -v[121:122]
	v_fma_f64 v[6:7], v[2:3], v[117:118], v[119:120]
	global_load_b128 v[117:120], v116, s[8:9] offset:62640
	ds_load_b128 v[121:124], v116 offset:62640
	s_wait_loadcnt_dscnt 0x0
	v_mul_f64_e32 v[0:1], v[123:124], v[119:120]
	v_mul_f64_e32 v[2:3], v[121:122], v[119:120]
	s_delay_alu instid0(VALU_DEP_2) | instskip(NEXT) | instid1(VALU_DEP_2)
	v_fma_f64 v[119:120], v[121:122], v[117:118], -v[0:1]
	v_fma_f64 v[121:122], v[123:124], v[117:118], v[2:3]
	ds_store_b128 v116, v[125:128]
	ds_store_b128 v116, v[112:115] offset:6480
	ds_store_b128 v116, v[108:111] offset:12960
	;; [unrolled: 1-line block ×29, first 2 shown]
	global_wb scope:SCOPE_SE
	s_wait_dscnt 0x0
	s_barrier_signal -1
	s_barrier_wait -1
	global_inv scope:SCOPE_SE
	ds_load_b128 v[0:3], v116
	ds_load_b128 v[4:7], v116 offset:12960
	ds_load_b128 v[8:11], v116 offset:25920
	s_wait_dscnt 0x1
	v_add_f64_e32 v[12:13], v[0:1], v[4:5]
	s_wait_dscnt 0x0
	v_add_f64_e64 v[24:25], v[4:5], -v[8:9]
	v_add_f64_e64 v[26:27], v[8:9], -v[4:5]
	;; [unrolled: 1-line block ×4, first 2 shown]
	v_add_f64_e32 v[16:17], v[12:13], v[8:9]
	v_add_f64_e32 v[12:13], v[2:3], v[6:7]
	s_delay_alu instid0(VALU_DEP_1)
	v_add_f64_e32 v[18:19], v[12:13], v[10:11]
	ds_load_b128 v[12:15], v116 offset:38880
	s_wait_dscnt 0x0
	v_add_f64_e32 v[20:21], v[8:9], v[12:13]
	v_add_f64_e64 v[22:23], v[10:11], -v[14:15]
	v_add_f64_e32 v[28:29], v[10:11], v[14:15]
	v_add_f64_e64 v[30:31], v[8:9], -v[12:13]
	ds_load_b128 v[8:11], v116 offset:51840
	s_wait_dscnt 0x0
	v_add_f64_e64 v[36:37], v[6:7], -v[10:11]
	v_add_f64_e32 v[38:39], v[4:5], v[8:9]
	v_add_f64_e64 v[40:41], v[4:5], -v[8:9]
	v_add_f64_e32 v[42:43], v[6:7], v[10:11]
	v_add_f64_e32 v[4:5], v[16:17], v[12:13]
	;; [unrolled: 1-line block ×3, first 2 shown]
	v_add_f64_e64 v[44:45], v[8:9], -v[12:13]
	v_add_f64_e64 v[46:47], v[12:13], -v[8:9]
	;; [unrolled: 1-line block ×4, first 2 shown]
	v_fma_f64 v[20:21], v[20:21], -0.5, v[0:1]
	v_fma_f64 v[28:29], v[28:29], -0.5, v[2:3]
	;; [unrolled: 1-line block ×4, first 2 shown]
	v_add_f64_e32 v[52:53], v[4:5], v[8:9]
	v_add_f64_e32 v[54:55], v[6:7], v[10:11]
	ds_load_b128 v[4:7], v116 offset:6480
	ds_load_b128 v[8:11], v116 offset:19440
	;; [unrolled: 1-line block ×3, first 2 shown]
	v_add_f64_e32 v[26:27], v[26:27], v[46:47]
	s_wait_dscnt 0x1
	v_add_f64_e32 v[16:17], v[4:5], v[8:9]
	s_wait_dscnt 0x0
	v_add_f64_e64 v[62:63], v[8:9], -v[12:13]
	v_add_f64_e64 v[78:79], v[12:13], -v[8:9]
	;; [unrolled: 1-line block ×4, first 2 shown]
	v_add_f64_e32 v[56:57], v[16:17], v[12:13]
	v_add_f64_e32 v[16:17], v[6:7], v[10:11]
	s_delay_alu instid0(VALU_DEP_1)
	v_add_f64_e32 v[58:59], v[16:17], v[14:15]
	ds_load_b128 v[16:19], v116 offset:45360
	s_wait_dscnt 0x0
	v_add_f64_e32 v[64:65], v[14:15], v[18:19]
	v_add_f64_e32 v[56:57], v[56:57], v[16:17]
	;; [unrolled: 1-line block ×3, first 2 shown]
	v_add_f64_e64 v[76:77], v[14:15], -v[18:19]
	v_add_f64_e64 v[80:81], v[12:13], -v[16:17]
	ds_load_b128 v[12:15], v116 offset:58320
	v_add_f64_e32 v[58:59], v[58:59], v[18:19]
	s_wait_dscnt 0x0
	v_add_f64_e32 v[66:67], v[8:9], v[12:13]
	v_add_f64_e64 v[8:9], v[8:9], -v[12:13]
	v_add_f64_e64 v[70:71], v[12:13], -v[16:17]
	;; [unrolled: 1-line block ×4, first 2 shown]
	v_add_f64_e32 v[10:11], v[10:11], v[14:15]
	v_add_f64_e64 v[72:73], v[14:15], -v[18:19]
	v_add_f64_e64 v[18:19], v[18:19], -v[14:15]
	v_fma_f64 v[38:39], v[64:65], -0.5, v[6:7]
	v_add_f64_e32 v[12:13], v[56:57], v[12:13]
	v_fma_f64 v[42:43], v[60:61], -0.5, v[4:5]
	v_add_f64_e32 v[14:15], v[58:59], v[14:15]
	;; [unrolled: 2-line block ×4, first 2 shown]
	v_add_f64_e32 v[24:25], v[68:69], v[72:73]
	v_add_f64_e32 v[18:19], v[82:83], v[18:19]
	;; [unrolled: 1-line block ×3, first 2 shown]
	v_add_f64_e64 v[117:118], v[52:53], -v[12:13]
	v_add_f64_e32 v[12:13], v[32:33], v[48:49]
	v_fma_f64 v[32:33], v[8:9], s[20:21], v[38:39]
	v_fma_f64 v[44:45], v[84:85], s[22:23], v[42:43]
	;; [unrolled: 1-line block ×3, first 2 shown]
	v_add_f64_e32 v[66:67], v[54:55], v[14:15]
	v_add_f64_e64 v[119:120], v[54:55], -v[14:15]
	v_add_f64_e32 v[14:15], v[62:63], v[70:71]
	v_fma_f64 v[32:33], v[80:81], s[16:17], v[32:33]
	v_fma_f64 v[44:45], v[76:77], s[18:19], v[44:45]
	;; [unrolled: 1-line block ×3, first 2 shown]
	s_delay_alu instid0(VALU_DEP_3) | instskip(NEXT) | instid1(VALU_DEP_3)
	v_fma_f64 v[32:33], v[24:25], s[14:15], v[32:33]
	v_fma_f64 v[44:45], v[14:15], s[14:15], v[44:45]
	s_delay_alu instid0(VALU_DEP_3) | instskip(NEXT) | instid1(VALU_DEP_3)
	v_fma_f64 v[52:53], v[12:13], s[14:15], v[52:53]
	v_mul_f64_e32 v[48:49], s[18:19], v[32:33]
	s_delay_alu instid0(VALU_DEP_1) | instskip(SKIP_1) | instid1(VALU_DEP_1)
	v_fma_f64 v[48:49], v[44:45], s[24:25], v[48:49]
	v_mul_f64_e32 v[44:45], s[16:17], v[44:45]
	v_fma_f64 v[32:33], v[32:33], s[24:25], v[44:45]
	v_fma_f64 v[44:45], v[36:37], s[22:23], v[20:21]
	s_delay_alu instid0(VALU_DEP_2) | instskip(NEXT) | instid1(VALU_DEP_2)
	v_add_f64_e32 v[70:71], v[52:53], v[32:33]
	v_fma_f64 v[44:45], v[22:23], s[18:19], v[44:45]
	v_add_f64_e64 v[74:75], v[52:53], -v[32:33]
	v_add_f64_e32 v[32:33], v[34:35], v[50:51]
	v_fma_f64 v[34:35], v[80:81], s[22:23], v[6:7]
	v_fma_f64 v[6:7], v[80:81], s[20:21], v[6:7]
	;; [unrolled: 1-line block ×3, first 2 shown]
	s_delay_alu instid0(VALU_DEP_3) | instskip(NEXT) | instid1(VALU_DEP_3)
	v_fma_f64 v[34:35], v[8:9], s[16:17], v[34:35]
	v_fma_f64 v[6:7], v[8:9], s[18:19], v[6:7]
	s_delay_alu instid0(VALU_DEP_3)
	v_add_f64_e32 v[68:69], v[44:45], v[48:49]
	v_add_f64_e64 v[72:73], v[44:45], -v[48:49]
	v_fma_f64 v[44:45], v[76:77], s[20:21], v[4:5]
	v_fma_f64 v[34:35], v[18:19], s[14:15], v[34:35]
	;; [unrolled: 1-line block ×7, first 2 shown]
	v_mul_f64_e32 v[46:47], s[22:23], v[34:35]
	v_mul_f64_e32 v[34:35], s[14:15], v[34:35]
	v_fma_f64 v[4:5], v[84:85], s[16:17], v[4:5]
	v_fma_f64 v[48:49], v[40:41], s[16:17], v[48:49]
	;; [unrolled: 1-line block ×4, first 2 shown]
	s_delay_alu instid0(VALU_DEP_4)
	v_fma_f64 v[4:5], v[16:17], s[14:15], v[4:5]
	v_mul_f64_e32 v[16:17], s[22:23], v[6:7]
	v_mul_f64_e32 v[6:7], s[26:27], v[6:7]
	v_fma_f64 v[2:3], v[32:33], s[14:15], v[2:3]
	v_fma_f64 v[48:49], v[32:33], s[14:15], v[48:49]
	;; [unrolled: 1-line block ×9, first 2 shown]
	v_add_f64_e32 v[58:59], v[48:49], v[34:35]
	v_fma_f64 v[44:45], v[36:37], s[18:19], v[44:45]
	v_fma_f64 v[0:1], v[36:37], s[16:17], v[0:1]
	v_add_f64_e64 v[62:63], v[48:49], -v[34:35]
	v_add_f64_e64 v[54:55], v[2:3], -v[4:5]
	v_fma_f64 v[6:7], v[76:77], s[16:17], v[6:7]
	v_fma_f64 v[44:45], v[26:27], s[14:15], v[44:45]
	;; [unrolled: 1-line block ×3, first 2 shown]
	s_delay_alu instid0(VALU_DEP_3) | instskip(NEXT) | instid1(VALU_DEP_3)
	v_fma_f64 v[6:7], v[14:15], s[14:15], v[6:7]
	v_add_f64_e32 v[56:57], v[44:45], v[46:47]
	v_add_f64_e64 v[60:61], v[44:45], -v[46:47]
	s_delay_alu instid0(VALU_DEP_4)
	v_add_f64_e32 v[44:45], v[0:1], v[16:17]
	v_add_f64_e64 v[52:53], v[0:1], -v[16:17]
	v_fma_f64 v[0:1], v[8:9], s[22:23], v[38:39]
	v_add_f64_e32 v[46:47], v[2:3], v[4:5]
	v_fma_f64 v[2:3], v[36:37], s[20:21], v[20:21]
	v_fma_f64 v[4:5], v[40:41], s[22:23], v[28:29]
	s_delay_alu instid0(VALU_DEP_4) | instskip(NEXT) | instid1(VALU_DEP_3)
	v_fma_f64 v[0:1], v[80:81], s[18:19], v[0:1]
	v_fma_f64 v[2:3], v[22:23], s[16:17], v[2:3]
	s_delay_alu instid0(VALU_DEP_3) | instskip(NEXT) | instid1(VALU_DEP_3)
	v_fma_f64 v[4:5], v[30:31], s[18:19], v[4:5]
	v_fma_f64 v[0:1], v[24:25], s[14:15], v[0:1]
	s_delay_alu instid0(VALU_DEP_3) | instskip(NEXT) | instid1(VALU_DEP_3)
	v_fma_f64 v[2:3], v[10:11], s[14:15], v[2:3]
	v_fma_f64 v[4:5], v[12:13], s[14:15], v[4:5]
	s_delay_alu instid0(VALU_DEP_3) | instskip(SKIP_1) | instid1(VALU_DEP_2)
	v_mul_f64_e32 v[8:9], s[18:19], v[0:1]
	v_mul_f64_e32 v[0:1], s[28:29], v[0:1]
	v_fma_f64 v[8:9], v[6:7], s[28:29], v[8:9]
	s_delay_alu instid0(VALU_DEP_2) | instskip(NEXT) | instid1(VALU_DEP_2)
	v_fma_f64 v[0:1], v[6:7], s[16:17], v[0:1]
	v_add_f64_e32 v[40:41], v[2:3], v[8:9]
	s_delay_alu instid0(VALU_DEP_2)
	v_add_f64_e32 v[42:43], v[4:5], v[0:1]
	v_add_f64_e64 v[48:49], v[2:3], -v[8:9]
	v_add_f64_e64 v[50:51], v[4:5], -v[0:1]
	ds_load_b128 v[84:87], v116 offset:2160
	ds_load_b128 v[80:83], v116 offset:8640
	;; [unrolled: 1-line block ×20, first 2 shown]
	global_wb scope:SCOPE_SE
	s_wait_dscnt 0x0
	s_barrier_signal -1
	s_barrier_wait -1
	global_inv scope:SCOPE_SE
	ds_store_b128 v237, v[64:67]
	ds_store_b128 v237, v[117:120] offset:80
	ds_store_b128 v237, v[68:71] offset:16
	;; [unrolled: 1-line block ×9, first 2 shown]
	v_add_f64_e32 v[42:43], v[86:87], v[106:107]
	v_add_f64_e32 v[40:41], v[84:85], v[104:105]
	v_add_f64_e64 v[72:73], v[106:107], -v[2:3]
	v_add_f64_e32 v[58:59], v[106:107], v[2:3]
	v_add_f64_e64 v[64:65], v[2:3], -v[110:111]
	v_add_f64_e64 v[66:67], v[110:111], -v[2:3]
	v_add_f64_e32 v[44:45], v[112:113], v[108:109]
	v_add_f64_e64 v[46:47], v[104:105], -v[112:113]
	v_add_f64_e64 v[52:53], v[112:113], -v[104:105]
	;; [unrolled: 1-line block ×4, first 2 shown]
	v_add_f64_e32 v[48:49], v[114:115], v[110:111]
	v_add_f64_e32 v[56:57], v[104:105], v[0:1]
	v_add_f64_e64 v[74:75], v[104:105], -v[0:1]
	v_add_f64_e64 v[60:61], v[0:1], -v[108:109]
	v_add_f64_e64 v[62:63], v[108:109], -v[0:1]
	v_add_f64_e32 v[104:105], v[96:97], v[92:93]
	v_add_f64_e32 v[119:120], v[88:89], v[100:101]
	v_add_f64_e64 v[50:51], v[106:107], -v[114:115]
	v_add_f64_e64 v[54:55], v[114:115], -v[106:107]
	;; [unrolled: 1-line block ×6, first 2 shown]
	v_add_f64_e32 v[42:43], v[42:43], v[114:115]
	v_add_f64_e32 v[40:41], v[40:41], v[112:113]
	;; [unrolled: 1-line block ×3, first 2 shown]
	v_add_f64_e64 v[114:115], v[90:91], -v[98:99]
	v_fma_f64 v[125:126], v[44:45], -0.5, v[84:85]
	v_fma_f64 v[127:128], v[48:49], -0.5, v[86:87]
	;; [unrolled: 1-line block ×5, first 2 shown]
	v_add_f64_e32 v[42:43], v[42:43], v[110:111]
	v_add_f64_e32 v[40:41], v[40:41], v[108:109]
	v_add_f64_e64 v[108:109], v[88:89], -v[96:97]
	v_add_f64_e64 v[110:111], v[96:97], -v[88:89]
	v_fma_f64 v[112:113], v[112:113], -0.5, v[82:83]
	v_add_f64_e32 v[42:43], v[42:43], v[2:3]
	v_add_f64_e32 v[2:3], v[82:83], v[90:91]
	;; [unrolled: 1-line block ×4, first 2 shown]
	v_add_f64_e64 v[88:89], v[88:89], -v[100:101]
	v_fma_f64 v[80:81], v[119:120], -0.5, v[80:81]
	v_add_f64_e32 v[2:3], v[2:3], v[98:99]
	v_add_f64_e64 v[98:99], v[98:99], -v[90:91]
	v_add_f64_e32 v[0:1], v[0:1], v[96:97]
	v_add_f64_e64 v[96:97], v[96:97], -v[92:93]
	v_add_f64_e32 v[90:91], v[90:91], v[102:103]
	v_fma_f64 v[44:45], v[88:89], s[20:21], v[112:113]
	v_add_f64_e32 v[2:3], v[2:3], v[94:95]
	v_add_f64_e64 v[94:95], v[94:95], -v[102:103]
	v_add_f64_e32 v[0:1], v[0:1], v[92:93]
	v_add_f64_e64 v[92:93], v[92:93], -v[100:101]
	v_fma_f64 v[82:83], v[90:91], -0.5, v[82:83]
	v_add_f64_e32 v[90:91], v[46:47], v[60:61]
	v_fma_f64 v[44:45], v[96:97], s[16:17], v[44:45]
	v_fma_f64 v[46:47], v[117:118], s[22:23], v[104:105]
	v_add_f64_e32 v[60:61], v[52:53], v[62:63]
	v_add_f64_e32 v[62:63], v[54:55], v[66:67]
	v_fma_f64 v[54:55], v[106:107], s[20:21], v[80:81]
	v_add_f64_e32 v[102:103], v[2:3], v[102:103]
	v_add_f64_e32 v[66:67], v[98:99], v[94:95]
	;; [unrolled: 1-line block ×3, first 2 shown]
	v_fma_f64 v[52:53], v[96:97], s[22:23], v[82:83]
	v_fma_f64 v[46:47], v[106:107], s[18:19], v[46:47]
	v_fma_f64 v[54:55], v[117:118], s[18:19], v[54:55]
	v_add_f64_e32 v[2:3], v[42:43], v[102:103]
	v_add_f64_e64 v[42:43], v[42:43], -v[102:103]
	v_add_f64_e32 v[102:103], v[108:109], v[121:122]
	v_add_f64_e32 v[108:109], v[114:115], v[123:124]
	;; [unrolled: 1-line block ×3, first 2 shown]
	v_add_f64_e64 v[40:41], v[40:41], -v[100:101]
	v_add_f64_e32 v[100:101], v[50:51], v[64:65]
	v_fma_f64 v[52:53], v[88:89], s[16:17], v[52:53]
	v_add_f64_e32 v[64:65], v[110:111], v[92:93]
	v_fma_f64 v[46:47], v[102:103], s[14:15], v[46:47]
	v_fma_f64 v[44:45], v[108:109], s[14:15], v[44:45]
	s_delay_alu instid0(VALU_DEP_4) | instskip(NEXT) | instid1(VALU_DEP_4)
	v_fma_f64 v[52:53], v[66:67], s[14:15], v[52:53]
	v_fma_f64 v[54:55], v[64:65], s[14:15], v[54:55]
	s_delay_alu instid0(VALU_DEP_3) | instskip(NEXT) | instid1(VALU_DEP_1)
	v_mul_f64_e32 v[48:49], s[18:19], v[44:45]
	v_fma_f64 v[48:49], v[46:47], s[24:25], v[48:49]
	v_mul_f64_e32 v[46:47], s[16:17], v[46:47]
	s_delay_alu instid0(VALU_DEP_1) | instskip(SKIP_2) | instid1(VALU_DEP_2)
	v_fma_f64 v[50:51], v[44:45], s[24:25], v[46:47]
	v_fma_f64 v[44:45], v[72:73], s[22:23], v[125:126]
	v_fma_f64 v[46:47], v[74:75], s[20:21], v[127:128]
	v_fma_f64 v[44:45], v[68:69], s[18:19], v[44:45]
	s_delay_alu instid0(VALU_DEP_2) | instskip(NEXT) | instid1(VALU_DEP_2)
	v_fma_f64 v[46:47], v[70:71], s[16:17], v[46:47]
	v_fma_f64 v[56:57], v[90:91], s[14:15], v[44:45]
	s_delay_alu instid0(VALU_DEP_2) | instskip(NEXT) | instid1(VALU_DEP_2)
	v_fma_f64 v[58:59], v[100:101], s[14:15], v[46:47]
	v_add_f64_e32 v[44:45], v[56:57], v[48:49]
	v_add_f64_e64 v[48:49], v[56:57], -v[48:49]
	v_mul_f64_e32 v[56:57], s[22:23], v[52:53]
	v_mul_f64_e32 v[52:53], s[14:15], v[52:53]
	v_add_f64_e32 v[46:47], v[58:59], v[50:51]
	v_add_f64_e64 v[50:51], v[58:59], -v[50:51]
	s_delay_alu instid0(VALU_DEP_4) | instskip(NEXT) | instid1(VALU_DEP_4)
	v_fma_f64 v[56:57], v[54:55], s[14:15], v[56:57]
	v_fma_f64 v[58:59], v[54:55], s[20:21], v[52:53]
	;; [unrolled: 1-line block ×5, first 2 shown]
	s_delay_alu instid0(VALU_DEP_3) | instskip(NEXT) | instid1(VALU_DEP_3)
	v_fma_f64 v[52:53], v[72:73], s[18:19], v[52:53]
	v_fma_f64 v[84:85], v[72:73], s[16:17], v[84:85]
	s_delay_alu instid0(VALU_DEP_3) | instskip(SKIP_1) | instid1(VALU_DEP_4)
	v_fma_f64 v[54:55], v[74:75], s[16:17], v[54:55]
	v_fma_f64 v[72:73], v[72:73], s[20:21], v[125:126]
	;; [unrolled: 1-line block ×3, first 2 shown]
	s_delay_alu instid0(VALU_DEP_4)
	v_fma_f64 v[84:85], v[60:61], s[14:15], v[84:85]
	v_fma_f64 v[60:61], v[70:71], s[20:21], v[86:87]
	;; [unrolled: 1-line block ×4, first 2 shown]
	v_add_f64_e32 v[52:53], v[92:93], v[56:57]
	v_add_f64_e64 v[56:57], v[92:93], -v[56:57]
	v_fma_f64 v[60:61], v[74:75], s[18:19], v[60:61]
	v_fma_f64 v[74:75], v[74:75], s[22:23], v[127:128]
	v_add_f64_e32 v[54:55], v[94:95], v[58:59]
	v_add_f64_e64 v[58:59], v[94:95], -v[58:59]
	s_delay_alu instid0(VALU_DEP_4)
	v_fma_f64 v[86:87], v[62:63], s[14:15], v[60:61]
	v_fma_f64 v[60:61], v[96:97], s[20:21], v[82:83]
	;; [unrolled: 1-line block ×16, first 2 shown]
	v_mul_f64_e32 v[64:65], s[22:23], v[60:61]
	v_mul_f64_e32 v[60:61], s[26:27], v[60:61]
	;; [unrolled: 1-line block ×4, first 2 shown]
	s_delay_alu instid0(VALU_DEP_4) | instskip(NEXT) | instid1(VALU_DEP_4)
	v_fma_f64 v[64:65], v[62:63], s[26:27], v[64:65]
	v_fma_f64 v[66:67], v[62:63], s[20:21], v[60:61]
	s_delay_alu instid0(VALU_DEP_4) | instskip(NEXT) | instid1(VALU_DEP_3)
	v_fma_f64 v[74:75], v[68:69], s[28:29], v[70:71]
	v_add_f64_e32 v[60:61], v[84:85], v[64:65]
	v_add_f64_e64 v[64:65], v[84:85], -v[64:65]
	v_fma_f64 v[84:85], v[68:69], s[16:17], v[72:73]
	v_add_f64_e32 v[62:63], v[86:87], v[66:67]
	v_add_f64_e32 v[68:69], v[80:81], v[74:75]
	v_add_f64_e64 v[66:67], v[86:87], -v[66:67]
	v_add_f64_e64 v[72:73], v[80:81], -v[74:75]
	v_add_f64_e64 v[80:81], v[28:29], -v[76:77]
	v_add_f64_e32 v[70:71], v[82:83], v[84:85]
	v_add_f64_e64 v[74:75], v[82:83], -v[84:85]
	ds_store_b128 v238, v[0:3]
	ds_store_b128 v238, v[44:47] offset:16
	ds_store_b128 v238, v[52:55] offset:32
	;; [unrolled: 1-line block ×9, first 2 shown]
	v_add_f64_e32 v[0:1], v[32:33], v[16:17]
	v_add_f64_e32 v[2:3], v[34:35], v[18:19]
	;; [unrolled: 1-line block ×4, first 2 shown]
	v_add_f64_e64 v[42:43], v[10:11], -v[14:15]
	v_add_f64_e64 v[44:45], v[16:17], -v[8:9]
	;; [unrolled: 1-line block ×3, first 2 shown]
	v_add_f64_e32 v[48:49], v[10:11], v[14:15]
	v_add_f64_e64 v[50:51], v[8:9], -v[12:13]
	v_add_f64_e64 v[52:53], v[10:11], -v[18:19]
	v_add_f64_e64 v[54:55], v[18:19], -v[6:7]
	v_add_f64_e64 v[56:57], v[16:17], -v[4:5]
	v_add_f64_e64 v[58:59], v[12:13], -v[4:5]
	v_add_f64_e64 v[60:61], v[14:15], -v[6:7]
	v_add_f64_e64 v[64:65], v[28:29], -v[20:21]
	v_add_f64_e64 v[66:67], v[20:21], -v[28:29]
	v_add_f64_e32 v[74:75], v[28:29], v[76:77]
	v_add_f64_e64 v[70:71], v[20:21], -v[24:25]
	v_add_f64_e64 v[72:73], v[30:31], -v[78:79]
	;; [unrolled: 1-line block ×4, first 2 shown]
	v_add_f64_e32 v[0:1], v[0:1], v[8:9]
	v_add_f64_e32 v[2:3], v[2:3], v[10:11]
	v_add_f64_e64 v[8:9], v[18:19], -v[10:11]
	v_add_f64_e32 v[10:11], v[16:17], v[4:5]
	v_add_f64_e32 v[16:17], v[18:19], v[6:7]
	v_add_f64_e64 v[18:19], v[4:5], -v[12:13]
	v_fma_f64 v[68:69], v[68:69], -0.5, v[38:39]
	v_fma_f64 v[40:41], v[40:41], -0.5, v[32:33]
	;; [unrolled: 1-line block ×3, first 2 shown]
	v_add_f64_e32 v[0:1], v[0:1], v[12:13]
	v_add_f64_e32 v[2:3], v[2:3], v[14:15]
	v_add_f64_e64 v[12:13], v[6:7], -v[14:15]
	v_add_f64_e32 v[14:15], v[20:21], v[24:25]
	v_fma_f64 v[32:33], v[10:11], -0.5, v[32:33]
	v_fma_f64 v[34:35], v[16:17], -0.5, v[34:35]
	v_add_f64_e32 v[4:5], v[0:1], v[4:5]
	v_add_f64_e32 v[0:1], v[36:37], v[28:29]
	v_add_f64_e32 v[28:29], v[30:31], v[78:79]
	v_add_f64_e32 v[6:7], v[2:3], v[6:7]
	v_add_f64_e32 v[2:3], v[38:39], v[30:31]
	v_fma_f64 v[84:85], v[14:15], -0.5, v[36:37]
	v_fma_f64 v[36:37], v[74:75], -0.5, v[36:37]
	v_add_f64_e32 v[0:1], v[0:1], v[20:21]
	v_add_f64_e64 v[20:21], v[30:31], -v[22:23]
	v_fma_f64 v[28:29], v[28:29], -0.5, v[38:39]
	v_add_f64_e32 v[38:39], v[44:45], v[18:19]
	v_add_f64_e32 v[44:45], v[8:9], v[12:13]
	v_fma_f64 v[8:9], v[80:81], s[20:21], v[68:69]
	v_add_f64_e32 v[2:3], v[2:3], v[22:23]
	v_add_f64_e64 v[22:23], v[22:23], -v[30:31]
	v_add_f64_e64 v[30:31], v[76:77], -v[24:25]
	v_fma_f64 v[10:11], v[72:73], s[22:23], v[84:85]
	v_add_f64_e32 v[0:1], v[0:1], v[24:25]
	v_add_f64_e32 v[74:75], v[20:21], v[82:83]
	v_add_f64_e64 v[24:25], v[24:25], -v[76:77]
	v_fma_f64 v[8:9], v[70:71], s[16:17], v[8:9]
	v_add_f64_e32 v[2:3], v[2:3], v[26:27]
	v_add_f64_e64 v[26:27], v[26:27], -v[78:79]
	v_add_f64_e32 v[64:65], v[64:65], v[30:31]
	v_fma_f64 v[10:11], v[62:63], s[18:19], v[10:11]
	v_add_f64_e32 v[30:31], v[46:47], v[58:59]
	v_add_f64_e32 v[46:47], v[52:53], v[60:61]
	v_add_f64_e32 v[76:77], v[0:1], v[76:77]
	v_add_f64_e32 v[24:25], v[66:67], v[24:25]
	v_fma_f64 v[8:9], v[74:75], s[14:15], v[8:9]
	v_add_f64_e32 v[78:79], v[2:3], v[78:79]
	v_add_f64_e32 v[26:27], v[22:23], v[26:27]
	v_fma_f64 v[10:11], v[64:65], s[14:15], v[10:11]
	v_add_f64_e32 v[0:1], v[4:5], v[76:77]
	v_add_f64_e64 v[4:5], v[4:5], -v[76:77]
	v_mul_f64_e32 v[12:13], s[18:19], v[8:9]
	v_add_f64_e32 v[2:3], v[6:7], v[78:79]
	v_add_f64_e64 v[6:7], v[6:7], -v[78:79]
	s_delay_alu instid0(VALU_DEP_3) | instskip(SKIP_1) | instid1(VALU_DEP_1)
	v_fma_f64 v[12:13], v[10:11], s[24:25], v[12:13]
	v_mul_f64_e32 v[10:11], s[16:17], v[10:11]
	v_fma_f64 v[14:15], v[8:9], s[24:25], v[10:11]
	v_fma_f64 v[8:9], v[54:55], s[22:23], v[40:41]
	;; [unrolled: 1-line block ×3, first 2 shown]
	s_delay_alu instid0(VALU_DEP_2) | instskip(NEXT) | instid1(VALU_DEP_2)
	v_fma_f64 v[8:9], v[42:43], s[18:19], v[8:9]
	v_fma_f64 v[10:11], v[50:51], s[16:17], v[10:11]
	s_delay_alu instid0(VALU_DEP_2) | instskip(NEXT) | instid1(VALU_DEP_2)
	v_fma_f64 v[16:17], v[38:39], s[14:15], v[8:9]
	v_fma_f64 v[18:19], v[44:45], s[14:15], v[10:11]
	s_delay_alu instid0(VALU_DEP_2) | instskip(SKIP_2) | instid1(VALU_DEP_4)
	v_add_f64_e32 v[8:9], v[16:17], v[12:13]
	v_add_f64_e64 v[12:13], v[16:17], -v[12:13]
	v_fma_f64 v[16:17], v[70:71], s[22:23], v[28:29]
	v_add_f64_e32 v[10:11], v[18:19], v[14:15]
	v_add_f64_e64 v[14:15], v[18:19], -v[14:15]
	v_fma_f64 v[18:19], v[62:63], s[20:21], v[36:37]
	v_fma_f64 v[28:29], v[70:71], s[20:21], v[28:29]
	;; [unrolled: 1-line block ×3, first 2 shown]
	s_delay_alu instid0(VALU_DEP_3) | instskip(NEXT) | instid1(VALU_DEP_3)
	v_fma_f64 v[18:19], v[72:73], s[18:19], v[18:19]
	v_fma_f64 v[28:29], v[80:81], s[18:19], v[28:29]
	s_delay_alu instid0(VALU_DEP_3) | instskip(NEXT) | instid1(VALU_DEP_3)
	v_fma_f64 v[16:17], v[26:27], s[14:15], v[16:17]
	v_fma_f64 v[18:19], v[24:25], s[14:15], v[18:19]
	s_delay_alu instid0(VALU_DEP_3) | instskip(SKIP_4) | instid1(VALU_DEP_4)
	v_fma_f64 v[26:27], v[26:27], s[14:15], v[28:29]
	v_fma_f64 v[28:29], v[62:63], s[22:23], v[36:37]
	v_fma_f64 v[36:37], v[56:57], s[22:23], v[48:49]
	v_mul_f64_e32 v[20:21], s[22:23], v[16:17]
	v_mul_f64_e32 v[16:17], s[14:15], v[16:17]
	v_fma_f64 v[28:29], v[72:73], s[16:17], v[28:29]
	s_delay_alu instid0(VALU_DEP_4) | instskip(NEXT) | instid1(VALU_DEP_4)
	v_fma_f64 v[36:37], v[50:51], s[18:19], v[36:37]
	v_fma_f64 v[20:21], v[18:19], s[14:15], v[20:21]
	s_delay_alu instid0(VALU_DEP_4)
	v_fma_f64 v[22:23], v[18:19], s[20:21], v[16:17]
	v_fma_f64 v[16:17], v[42:43], s[20:21], v[32:33]
	v_fma_f64 v[32:33], v[42:43], s[22:23], v[32:33]
	v_fma_f64 v[18:19], v[50:51], s[22:23], v[34:35]
	v_fma_f64 v[24:25], v[24:25], s[14:15], v[28:29]
	v_mul_f64_e32 v[28:29], s[22:23], v[26:27]
	v_mul_f64_e32 v[26:27], s[26:27], v[26:27]
	v_fma_f64 v[16:17], v[54:55], s[18:19], v[16:17]
	v_fma_f64 v[32:33], v[54:55], s[16:17], v[32:33]
	;; [unrolled: 1-line block ×4, first 2 shown]
	s_delay_alu instid0(VALU_DEP_4) | instskip(NEXT) | instid1(VALU_DEP_4)
	v_fma_f64 v[52:53], v[30:31], s[14:15], v[16:17]
	v_fma_f64 v[30:31], v[30:31], s[14:15], v[32:33]
	;; [unrolled: 1-line block ×5, first 2 shown]
	v_add_f64_e32 v[16:17], v[52:53], v[20:21]
	v_add_f64_e32 v[24:25], v[30:31], v[28:29]
	v_fma_f64 v[32:33], v[56:57], s[18:19], v[32:33]
	v_add_f64_e64 v[28:29], v[30:31], -v[28:29]
	v_add_f64_e32 v[18:19], v[58:59], v[22:23]
	v_add_f64_e64 v[20:21], v[52:53], -v[20:21]
	v_add_f64_e64 v[22:23], v[58:59], -v[22:23]
	v_fma_f64 v[32:33], v[46:47], s[14:15], v[32:33]
	s_delay_alu instid0(VALU_DEP_1) | instskip(SKIP_4) | instid1(VALU_DEP_3)
	v_add_f64_e32 v[26:27], v[32:33], v[34:35]
	v_add_f64_e64 v[30:31], v[32:33], -v[34:35]
	v_fma_f64 v[32:33], v[80:81], s[22:23], v[68:69]
	v_fma_f64 v[34:35], v[54:55], s[20:21], v[40:41]
	;; [unrolled: 1-line block ×4, first 2 shown]
	s_delay_alu instid0(VALU_DEP_3) | instskip(NEXT) | instid1(VALU_DEP_3)
	v_fma_f64 v[34:35], v[42:43], s[16:17], v[34:35]
	v_fma_f64 v[40:41], v[62:63], s[16:17], v[40:41]
	;; [unrolled: 1-line block ×3, first 2 shown]
	s_delay_alu instid0(VALU_DEP_4) | instskip(NEXT) | instid1(VALU_DEP_4)
	v_fma_f64 v[32:33], v[74:75], s[14:15], v[32:33]
	v_fma_f64 v[38:39], v[38:39], s[14:15], v[34:35]
	s_delay_alu instid0(VALU_DEP_4) | instskip(NEXT) | instid1(VALU_DEP_3)
	v_fma_f64 v[34:35], v[64:65], s[14:15], v[40:41]
	v_mul_f64_e32 v[36:37], s[18:19], v[32:33]
	v_mul_f64_e32 v[32:33], s[28:29], v[32:33]
	s_delay_alu instid0(VALU_DEP_2) | instskip(NEXT) | instid1(VALU_DEP_2)
	v_fma_f64 v[36:37], v[34:35], s[28:29], v[36:37]
	v_fma_f64 v[40:41], v[34:35], s[16:17], v[32:33]
	s_delay_alu instid0(VALU_DEP_2) | instskip(NEXT) | instid1(VALU_DEP_2)
	v_add_f64_e32 v[32:33], v[38:39], v[36:37]
	v_add_f64_e32 v[34:35], v[42:43], v[40:41]
	v_add_f64_e64 v[36:37], v[38:39], -v[36:37]
	v_add_f64_e64 v[38:39], v[42:43], -v[40:41]
	ds_store_b128 v247, v[0:3]
	ds_store_b128 v247, v[8:11] offset:16
	ds_store_b128 v247, v[16:19] offset:32
	;; [unrolled: 1-line block ×9, first 2 shown]
	global_wb scope:SCOPE_SE
	s_wait_dscnt 0x0
	s_barrier_signal -1
	s_barrier_wait -1
	global_inv scope:SCOPE_SE
	s_clause 0x3
	scratch_load_b128 v[8:11], off, off offset:1228 th:TH_LOAD_LU
	scratch_load_b128 v[22:25], off, off offset:1212 th:TH_LOAD_LU
	;; [unrolled: 1-line block ×4, first 2 shown]
	ds_load_b128 v[4:7], v116 offset:12960
	s_wait_loadcnt_dscnt 0x300
	v_mul_f64_e32 v[0:1], v[10:11], v[6:7]
	s_delay_alu instid0(VALU_DEP_1) | instskip(SKIP_1) | instid1(VALU_DEP_1)
	v_fma_f64 v[2:3], v[8:9], v[4:5], v[0:1]
	v_mul_f64_e32 v[0:1], v[10:11], v[4:5]
	v_fma_f64 v[0:1], v[8:9], v[6:7], -v[0:1]
	ds_load_b128 v[8:11], v116 offset:25920
	s_wait_loadcnt_dscnt 0x100
	v_mul_f64_e32 v[4:5], v[14:15], v[10:11]
	s_delay_alu instid0(VALU_DEP_1) | instskip(SKIP_1) | instid1(VALU_DEP_1)
	v_fma_f64 v[6:7], v[12:13], v[8:9], v[4:5]
	v_mul_f64_e32 v[4:5], v[14:15], v[8:9]
	v_fma_f64 v[8:9], v[12:13], v[10:11], -v[4:5]
	ds_load_b128 v[12:15], v116 offset:38880
	s_wait_loadcnt_dscnt 0x0
	v_mul_f64_e32 v[4:5], v[18:19], v[14:15]
	s_delay_alu instid0(VALU_DEP_1)
	v_fma_f64 v[10:11], v[16:17], v[12:13], v[4:5]
	v_mul_f64_e32 v[4:5], v[18:19], v[12:13]
	scratch_load_b128 v[18:21], off, off offset:1276 th:TH_LOAD_LU ; 16-byte Folded Reload
	v_add_f64_e64 v[36:37], v[6:7], -v[10:11]
	v_fma_f64 v[4:5], v[16:17], v[14:15], -v[4:5]
	ds_load_b128 v[14:17], v116 offset:51840
	v_add_f64_e64 v[32:33], v[8:9], -v[4:5]
	s_wait_loadcnt_dscnt 0x0
	v_mul_f64_e32 v[12:13], v[20:21], v[16:17]
	s_delay_alu instid0(VALU_DEP_1) | instskip(SKIP_1) | instid1(VALU_DEP_2)
	v_fma_f64 v[12:13], v[18:19], v[14:15], v[12:13]
	v_mul_f64_e32 v[14:15], v[20:21], v[14:15]
	v_add_f64_e64 v[38:39], v[2:3], -v[12:13]
	s_delay_alu instid0(VALU_DEP_2) | instskip(SKIP_4) | instid1(VALU_DEP_2)
	v_fma_f64 v[14:15], v[18:19], v[16:17], -v[14:15]
	ds_load_b128 v[16:19], v116 offset:15120
	s_wait_dscnt 0x0
	v_mul_f64_e32 v[20:21], v[24:25], v[18:19]
	v_add_f64_e64 v[34:35], v[0:1], -v[14:15]
	v_fma_f64 v[106:107], v[22:23], v[16:17], v[20:21]
	v_mul_f64_e32 v[16:17], v[24:25], v[16:17]
	s_delay_alu instid0(VALU_DEP_1) | instskip(SKIP_4) | instid1(VALU_DEP_1)
	v_fma_f64 v[104:105], v[22:23], v[18:19], -v[16:17]
	scratch_load_b128 v[22:25], off, off offset:1196 th:TH_LOAD_LU ; 16-byte Folded Reload
	ds_load_b128 v[16:19], v116 offset:28080
	s_wait_loadcnt_dscnt 0x0
	v_mul_f64_e32 v[20:21], v[24:25], v[18:19]
	v_fma_f64 v[108:109], v[22:23], v[16:17], v[20:21]
	v_mul_f64_e32 v[16:17], v[24:25], v[16:17]
	s_delay_alu instid0(VALU_DEP_1) | instskip(SKIP_4) | instid1(VALU_DEP_1)
	v_fma_f64 v[110:111], v[22:23], v[18:19], -v[16:17]
	scratch_load_b128 v[22:25], off, off offset:1180 th:TH_LOAD_LU ; 16-byte Folded Reload
	ds_load_b128 v[16:19], v116 offset:41040
	s_wait_loadcnt_dscnt 0x0
	v_mul_f64_e32 v[20:21], v[24:25], v[18:19]
	;; [unrolled: 8-line block ×19, first 2 shown]
	v_fma_f64 v[52:53], v[22:23], v[16:17], v[20:21]
	v_mul_f64_e32 v[16:17], v[24:25], v[16:17]
	ds_load_b128 v[24:27], v116
	v_fma_f64 v[54:55], v[22:23], v[18:19], -v[16:17]
	v_add_f64_e64 v[16:17], v[6:7], -v[2:3]
	v_add_f64_e64 v[18:19], v[10:11], -v[12:13]
	s_delay_alu instid0(VALU_DEP_1) | instskip(SKIP_2) | instid1(VALU_DEP_1)
	v_add_f64_e32 v[20:21], v[16:17], v[18:19]
	v_add_f64_e64 v[16:17], v[8:9], -v[0:1]
	v_add_f64_e64 v[18:19], v[4:5], -v[14:15]
	v_add_f64_e32 v[22:23], v[16:17], v[18:19]
	v_add_f64_e32 v[16:17], v[2:3], v[12:13]
	s_wait_dscnt 0x0
	s_delay_alu instid0(VALU_DEP_1) | instskip(SKIP_1) | instid1(VALU_DEP_1)
	v_fma_f64 v[28:29], v[16:17], -0.5, v[24:25]
	v_add_f64_e32 v[16:17], v[0:1], v[14:15]
	v_fma_f64 v[30:31], v[16:17], -0.5, v[26:27]
	s_delay_alu instid0(VALU_DEP_3) | instskip(SKIP_1) | instid1(VALU_DEP_3)
	v_fma_f64 v[16:17], v[32:33], s[20:21], v[28:29]
	v_fma_f64 v[28:29], v[32:33], s[22:23], v[28:29]
	;; [unrolled: 1-line block ×3, first 2 shown]
	s_delay_alu instid0(VALU_DEP_3) | instskip(NEXT) | instid1(VALU_DEP_3)
	v_fma_f64 v[16:17], v[34:35], s[18:19], v[16:17]
	v_fma_f64 v[28:29], v[34:35], s[16:17], v[28:29]
	;; [unrolled: 1-line block ×3, first 2 shown]
	s_delay_alu instid0(VALU_DEP_4) | instskip(NEXT) | instid1(VALU_DEP_4)
	v_fma_f64 v[18:19], v[38:39], s[16:17], v[18:19]
	v_fma_f64 v[16:17], v[20:21], s[14:15], v[16:17]
	s_delay_alu instid0(VALU_DEP_4) | instskip(SKIP_3) | instid1(VALU_DEP_3)
	v_fma_f64 v[20:21], v[20:21], s[14:15], v[28:29]
	v_add_f64_e32 v[28:29], v[6:7], v[10:11]
	v_fma_f64 v[30:31], v[38:39], s[18:19], v[30:31]
	v_fma_f64 v[18:19], v[22:23], s[14:15], v[18:19]
	v_fma_f64 v[120:121], v[28:29], -0.5, v[24:25]
	v_add_f64_e32 v[28:29], v[8:9], v[4:5]
	v_add_f64_e32 v[24:25], v[24:25], v[2:3]
	v_add_f64_e64 v[2:3], v[2:3], -v[6:7]
	v_fma_f64 v[22:23], v[22:23], s[14:15], v[30:31]
	s_delay_alu instid0(VALU_DEP_4) | instskip(SKIP_3) | instid1(VALU_DEP_3)
	v_fma_f64 v[122:123], v[28:29], -0.5, v[26:27]
	v_add_f64_e32 v[26:27], v[26:27], v[0:1]
	v_add_f64_e32 v[6:7], v[24:25], v[6:7]
	v_add_f64_e64 v[0:1], v[0:1], -v[8:9]
	v_add_f64_e32 v[24:25], v[26:27], v[8:9]
	s_delay_alu instid0(VALU_DEP_3) | instskip(SKIP_1) | instid1(VALU_DEP_3)
	v_add_f64_e32 v[6:7], v[6:7], v[10:11]
	v_add_f64_e64 v[10:11], v[12:13], -v[10:11]
	v_add_f64_e32 v[8:9], v[24:25], v[4:5]
	s_delay_alu instid0(VALU_DEP_3)
	v_add_f64_e32 v[28:29], v[6:7], v[12:13]
	v_add_f64_e64 v[4:5], v[14:15], -v[4:5]
	v_fma_f64 v[6:7], v[34:35], s[22:23], v[120:121]
	v_fma_f64 v[12:13], v[38:39], s[20:21], v[122:123]
	v_add_f64_e32 v[2:3], v[2:3], v[10:11]
	v_add_f64_e32 v[30:31], v[8:9], v[14:15]
	v_fma_f64 v[8:9], v[34:35], s[20:21], v[120:121]
	v_fma_f64 v[14:15], v[38:39], s[22:23], v[122:123]
	v_add_f64_e32 v[0:1], v[0:1], v[4:5]
	v_fma_f64 v[4:5], v[32:33], s[18:19], v[6:7]
	s_delay_alu instid0(VALU_DEP_4) | instskip(SKIP_2) | instid1(VALU_DEP_4)
	v_fma_f64 v[6:7], v[32:33], s[16:17], v[8:9]
	v_fma_f64 v[8:9], v[36:37], s[16:17], v[12:13]
	;; [unrolled: 1-line block ×4, first 2 shown]
	s_delay_alu instid0(VALU_DEP_4) | instskip(NEXT) | instid1(VALU_DEP_4)
	v_fma_f64 v[24:25], v[2:3], s[14:15], v[6:7]
	v_fma_f64 v[34:35], v[0:1], s[14:15], v[8:9]
	s_delay_alu instid0(VALU_DEP_4)
	v_fma_f64 v[26:27], v[0:1], s[14:15], v[10:11]
	ds_load_b128 v[36:39], v116 offset:2160
	ds_load_b128 v[12:15], v116 offset:4320
	;; [unrolled: 1-line block ×5, first 2 shown]
	global_wb scope:SCOPE_SE
	s_wait_dscnt 0x0
	s_barrier_signal -1
	s_barrier_wait -1
	global_inv scope:SCOPE_SE
	scratch_load_b32 v117, off, off offset:904 th:TH_LOAD_LU ; 4-byte Folded Reload
	s_wait_loadcnt 0x0
	ds_store_b128 v117, v[28:31]
	ds_store_b128 v117, v[32:35] offset:160
	ds_store_b128 v117, v[16:19] offset:320
	;; [unrolled: 1-line block ×4, first 2 shown]
	v_add_f64_e64 v[16:17], v[108:109], -v[106:107]
	v_add_f64_e64 v[18:19], v[114:115], -v[237:238]
	;; [unrolled: 1-line block ×6, first 2 shown]
	v_add_f64_e32 v[20:21], v[16:17], v[18:19]
	v_add_f64_e64 v[16:17], v[110:111], -v[104:105]
	v_add_f64_e64 v[18:19], v[112:113], -v[118:119]
	s_delay_alu instid0(VALU_DEP_1) | instskip(SKIP_1) | instid1(VALU_DEP_1)
	v_add_f64_e32 v[22:23], v[16:17], v[18:19]
	v_add_f64_e32 v[16:17], v[106:107], v[237:238]
	v_fma_f64 v[24:25], v[16:17], -0.5, v[36:37]
	v_add_f64_e32 v[16:17], v[104:105], v[118:119]
	s_delay_alu instid0(VALU_DEP_1) | instskip(NEXT) | instid1(VALU_DEP_3)
	v_fma_f64 v[26:27], v[16:17], -0.5, v[38:39]
	v_fma_f64 v[16:17], v[28:29], s[20:21], v[24:25]
	v_fma_f64 v[24:25], v[28:29], s[22:23], v[24:25]
	s_delay_alu instid0(VALU_DEP_3) | instskip(NEXT) | instid1(VALU_DEP_3)
	v_fma_f64 v[18:19], v[32:33], s[22:23], v[26:27]
	v_fma_f64 v[16:17], v[30:31], s[18:19], v[16:17]
	s_delay_alu instid0(VALU_DEP_3) | instskip(SKIP_1) | instid1(VALU_DEP_4)
	v_fma_f64 v[24:25], v[30:31], s[16:17], v[24:25]
	v_fma_f64 v[26:27], v[32:33], s[20:21], v[26:27]
	;; [unrolled: 1-line block ×3, first 2 shown]
	s_delay_alu instid0(VALU_DEP_4) | instskip(NEXT) | instid1(VALU_DEP_4)
	v_fma_f64 v[16:17], v[20:21], s[14:15], v[16:17]
	v_fma_f64 v[20:21], v[20:21], s[14:15], v[24:25]
	v_add_f64_e32 v[24:25], v[108:109], v[114:115]
	v_fma_f64 v[26:27], v[34:35], s[18:19], v[26:27]
	v_fma_f64 v[18:19], v[22:23], s[14:15], v[18:19]
	s_delay_alu instid0(VALU_DEP_3) | instskip(SKIP_1) | instid1(VALU_DEP_4)
	v_fma_f64 v[120:121], v[24:25], -0.5, v[36:37]
	v_add_f64_e32 v[24:25], v[110:111], v[112:113]
	v_fma_f64 v[22:23], v[22:23], s[14:15], v[26:27]
	v_add_f64_e32 v[26:27], v[38:39], v[104:105]
	s_delay_alu instid0(VALU_DEP_3)
	v_fma_f64 v[122:123], v[24:25], -0.5, v[38:39]
	v_add_f64_e32 v[24:25], v[36:37], v[106:107]
	v_add_f64_e64 v[36:37], v[106:107], -v[108:109]
	v_add_f64_e64 v[38:39], v[104:105], -v[110:111]
	;; [unrolled: 1-line block ×4, first 2 shown]
	v_add_f64_e32 v[26:27], v[26:27], v[110:111]
	v_fma_f64 v[110:111], v[34:35], s[20:21], v[122:123]
	v_add_f64_e32 v[24:25], v[24:25], v[108:109]
	v_fma_f64 v[108:109], v[30:31], s[22:23], v[120:121]
	v_fma_f64 v[30:31], v[30:31], s[20:21], v[120:121]
	;; [unrolled: 1-line block ×3, first 2 shown]
	v_add_f64_e32 v[36:37], v[36:37], v[104:105]
	v_add_f64_e32 v[38:39], v[38:39], v[106:107]
	;; [unrolled: 1-line block ×4, first 2 shown]
	v_fma_f64 v[104:105], v[28:29], s[18:19], v[108:109]
	v_fma_f64 v[106:107], v[28:29], s[16:17], v[30:31]
	v_fma_f64 v[30:31], v[32:33], s[16:17], v[110:111]
	v_fma_f64 v[34:35], v[32:33], s[18:19], v[34:35]
	v_add_f64_e32 v[26:27], v[26:27], v[118:119]
	v_add_f64_e32 v[24:25], v[24:25], v[237:238]
	v_fma_f64 v[28:29], v[36:37], s[14:15], v[104:105]
	v_fma_f64 v[32:33], v[36:37], s[14:15], v[106:107]
	scratch_load_b32 v36, off, off offset:900 th:TH_LOAD_LU ; 4-byte Folded Reload
	v_fma_f64 v[30:31], v[38:39], s[14:15], v[30:31]
	v_fma_f64 v[34:35], v[38:39], s[14:15], v[34:35]
	s_wait_loadcnt 0x0
	ds_store_b128 v36, v[24:27]
	ds_store_b128 v36, v[28:31] offset:160
	ds_store_b128 v36, v[16:19] offset:320
	ds_store_b128 v36, v[20:23] offset:480
	ds_store_b128 v36, v[32:35] offset:640
	v_add_f64_e64 v[16:17], v[94:95], -v[90:91]
	v_add_f64_e64 v[18:19], v[98:99], -v[100:101]
	v_add_f64_e64 v[32:33], v[94:95], -v[98:99]
	v_add_f64_e64 v[28:29], v[96:97], -v[92:93]
	v_add_f64_e64 v[34:35], v[90:91], -v[100:101]
	v_add_f64_e64 v[30:31], v[88:89], -v[102:103]
	v_add_f64_e64 v[36:37], v[90:91], -v[94:95]
	v_add_f64_e64 v[38:39], v[88:89], -v[96:97]
	v_add_f64_e32 v[20:21], v[16:17], v[18:19]
	v_add_f64_e64 v[16:17], v[96:97], -v[88:89]
	v_add_f64_e64 v[18:19], v[92:93], -v[102:103]
	s_delay_alu instid0(VALU_DEP_1) | instskip(SKIP_1) | instid1(VALU_DEP_1)
	v_add_f64_e32 v[22:23], v[16:17], v[18:19]
	v_add_f64_e32 v[16:17], v[90:91], v[100:101]
	v_fma_f64 v[24:25], v[16:17], -0.5, v[12:13]
	v_add_f64_e32 v[16:17], v[88:89], v[102:103]
	s_delay_alu instid0(VALU_DEP_1) | instskip(NEXT) | instid1(VALU_DEP_3)
	v_fma_f64 v[26:27], v[16:17], -0.5, v[14:15]
	v_fma_f64 v[16:17], v[28:29], s[20:21], v[24:25]
	v_fma_f64 v[24:25], v[28:29], s[22:23], v[24:25]
	s_delay_alu instid0(VALU_DEP_3) | instskip(SKIP_1) | instid1(VALU_DEP_4)
	v_fma_f64 v[18:19], v[32:33], s[22:23], v[26:27]
	v_fma_f64 v[26:27], v[32:33], s[20:21], v[26:27]
	;; [unrolled: 1-line block ×3, first 2 shown]
	s_delay_alu instid0(VALU_DEP_4) | instskip(NEXT) | instid1(VALU_DEP_4)
	v_fma_f64 v[24:25], v[30:31], s[16:17], v[24:25]
	v_fma_f64 v[18:19], v[34:35], s[16:17], v[18:19]
	s_delay_alu instid0(VALU_DEP_4) | instskip(NEXT) | instid1(VALU_DEP_4)
	v_fma_f64 v[26:27], v[34:35], s[18:19], v[26:27]
	v_fma_f64 v[16:17], v[20:21], s[14:15], v[16:17]
	s_delay_alu instid0(VALU_DEP_4) | instskip(SKIP_4) | instid1(VALU_DEP_4)
	v_fma_f64 v[20:21], v[20:21], s[14:15], v[24:25]
	v_add_f64_e32 v[24:25], v[94:95], v[98:99]
	v_fma_f64 v[18:19], v[22:23], s[14:15], v[18:19]
	v_fma_f64 v[22:23], v[22:23], s[14:15], v[26:27]
	v_add_f64_e32 v[26:27], v[96:97], v[92:93]
	v_fma_f64 v[24:25], v[24:25], -0.5, v[12:13]
	v_add_f64_e32 v[12:13], v[12:13], v[90:91]
	v_add_f64_e64 v[90:91], v[102:103], -v[92:93]
	s_delay_alu instid0(VALU_DEP_4) | instskip(SKIP_3) | instid1(VALU_DEP_3)
	v_fma_f64 v[26:27], v[26:27], -0.5, v[14:15]
	v_add_f64_e32 v[14:15], v[14:15], v[88:89]
	v_add_f64_e64 v[88:89], v[100:101], -v[98:99]
	v_add_f64_e32 v[12:13], v[12:13], v[94:95]
	v_add_f64_e32 v[14:15], v[14:15], v[96:97]
	s_delay_alu instid0(VALU_DEP_2) | instskip(NEXT) | instid1(VALU_DEP_2)
	v_add_f64_e32 v[12:13], v[12:13], v[98:99]
	v_add_f64_e32 v[14:15], v[14:15], v[92:93]
	v_fma_f64 v[92:93], v[30:31], s[22:23], v[24:25]
	v_fma_f64 v[24:25], v[30:31], s[20:21], v[24:25]
	;; [unrolled: 1-line block ×4, first 2 shown]
	v_add_f64_e32 v[34:35], v[36:37], v[88:89]
	v_add_f64_e32 v[36:37], v[38:39], v[90:91]
	;; [unrolled: 1-line block ×4, first 2 shown]
	v_fma_f64 v[38:39], v[28:29], s[18:19], v[92:93]
	v_fma_f64 v[28:29], v[28:29], s[16:17], v[24:25]
	;; [unrolled: 1-line block ×4, first 2 shown]
	s_delay_alu instid0(VALU_DEP_4) | instskip(NEXT) | instid1(VALU_DEP_4)
	v_fma_f64 v[24:25], v[34:35], s[14:15], v[38:39]
	v_fma_f64 v[28:29], v[34:35], s[14:15], v[28:29]
	s_delay_alu instid0(VALU_DEP_4) | instskip(NEXT) | instid1(VALU_DEP_4)
	v_fma_f64 v[26:27], v[36:37], s[14:15], v[30:31]
	v_fma_f64 v[30:31], v[36:37], s[14:15], v[32:33]
	scratch_load_b32 v32, off, off offset:896 th:TH_LOAD_LU ; 4-byte Folded Reload
	s_wait_loadcnt 0x0
	ds_store_b128 v32, v[12:15]
	ds_store_b128 v32, v[24:27] offset:160
	ds_store_b128 v32, v[16:19] offset:320
	;; [unrolled: 1-line block ×4, first 2 shown]
	v_add_f64_e64 v[12:13], v[76:77], -v[74:75]
	v_add_f64_e64 v[14:15], v[82:83], -v[84:85]
	;; [unrolled: 1-line block ×10, first 2 shown]
	v_add_f64_e32 v[16:17], v[12:13], v[14:15]
	v_add_f64_e64 v[12:13], v[78:79], -v[72:73]
	v_add_f64_e64 v[14:15], v[80:81], -v[86:87]
	s_delay_alu instid0(VALU_DEP_1) | instskip(SKIP_1) | instid1(VALU_DEP_1)
	v_add_f64_e32 v[18:19], v[12:13], v[14:15]
	v_add_f64_e32 v[12:13], v[74:75], v[84:85]
	v_fma_f64 v[20:21], v[12:13], -0.5, v[8:9]
	v_add_f64_e32 v[12:13], v[72:73], v[86:87]
	s_delay_alu instid0(VALU_DEP_1) | instskip(NEXT) | instid1(VALU_DEP_3)
	v_fma_f64 v[22:23], v[12:13], -0.5, v[10:11]
	v_fma_f64 v[12:13], v[24:25], s[20:21], v[20:21]
	v_fma_f64 v[20:21], v[24:25], s[22:23], v[20:21]
	s_delay_alu instid0(VALU_DEP_3) | instskip(SKIP_1) | instid1(VALU_DEP_4)
	v_fma_f64 v[14:15], v[28:29], s[22:23], v[22:23]
	v_fma_f64 v[22:23], v[28:29], s[20:21], v[22:23]
	;; [unrolled: 1-line block ×3, first 2 shown]
	s_delay_alu instid0(VALU_DEP_4) | instskip(NEXT) | instid1(VALU_DEP_4)
	v_fma_f64 v[20:21], v[26:27], s[16:17], v[20:21]
	v_fma_f64 v[14:15], v[30:31], s[16:17], v[14:15]
	s_delay_alu instid0(VALU_DEP_4) | instskip(NEXT) | instid1(VALU_DEP_4)
	v_fma_f64 v[22:23], v[30:31], s[18:19], v[22:23]
	v_fma_f64 v[12:13], v[16:17], s[14:15], v[12:13]
	s_delay_alu instid0(VALU_DEP_4) | instskip(SKIP_4) | instid1(VALU_DEP_4)
	v_fma_f64 v[16:17], v[16:17], s[14:15], v[20:21]
	v_add_f64_e32 v[20:21], v[76:77], v[82:83]
	v_fma_f64 v[14:15], v[18:19], s[14:15], v[14:15]
	v_fma_f64 v[18:19], v[18:19], s[14:15], v[22:23]
	v_add_f64_e32 v[22:23], v[78:79], v[80:81]
	v_fma_f64 v[20:21], v[20:21], -0.5, v[8:9]
	v_add_f64_e32 v[8:9], v[8:9], v[74:75]
	s_delay_alu instid0(VALU_DEP_3) | instskip(SKIP_1) | instid1(VALU_DEP_4)
	v_fma_f64 v[22:23], v[22:23], -0.5, v[10:11]
	v_add_f64_e32 v[10:11], v[10:11], v[72:73]
	v_fma_f64 v[72:73], v[26:27], s[22:23], v[20:21]
	v_fma_f64 v[20:21], v[26:27], s[20:21], v[20:21]
	v_add_f64_e32 v[8:9], v[8:9], v[76:77]
	v_fma_f64 v[26:27], v[30:31], s[20:21], v[22:23]
	v_fma_f64 v[22:23], v[30:31], s[22:23], v[22:23]
	v_add_f64_e32 v[30:31], v[32:33], v[36:37]
	v_add_f64_e32 v[32:33], v[34:35], v[38:39]
	;; [unrolled: 1-line block ×4, first 2 shown]
	v_fma_f64 v[34:35], v[24:25], s[18:19], v[72:73]
	v_fma_f64 v[24:25], v[24:25], s[16:17], v[20:21]
	;; [unrolled: 1-line block ×4, first 2 shown]
	v_add_f64_e32 v[10:11], v[10:11], v[80:81]
	v_add_f64_e32 v[8:9], v[8:9], v[84:85]
	v_fma_f64 v[20:21], v[30:31], s[14:15], v[34:35]
	v_fma_f64 v[24:25], v[30:31], s[14:15], v[24:25]
	v_add_f64_e64 v[30:31], v[56:57], -v[64:65]
	v_add_f64_e64 v[34:35], v[70:71], -v[60:61]
	v_fma_f64 v[22:23], v[32:33], s[14:15], v[26:27]
	v_fma_f64 v[26:27], v[32:33], s[14:15], v[28:29]
	scratch_load_b32 v28, off, off offset:892 th:TH_LOAD_LU ; 4-byte Folded Reload
	v_add_f64_e64 v[32:33], v[68:69], -v[66:67]
	v_add_f64_e32 v[10:11], v[10:11], v[86:87]
	s_wait_loadcnt 0x0
	ds_store_b128 v28, v[8:11]
	ds_store_b128 v28, v[20:23] offset:160
	ds_store_b128 v28, v[12:15] offset:320
	;; [unrolled: 1-line block ×4, first 2 shown]
	v_add_f64_e64 v[8:9], v[62:63], -v[58:59]
	v_add_f64_e64 v[10:11], v[66:67], -v[68:69]
	;; [unrolled: 1-line block ×7, first 2 shown]
	v_add_f64_e32 v[12:13], v[8:9], v[10:11]
	v_add_f64_e64 v[8:9], v[64:65], -v[56:57]
	v_add_f64_e64 v[10:11], v[60:61], -v[70:71]
	s_delay_alu instid0(VALU_DEP_1) | instskip(SKIP_1) | instid1(VALU_DEP_1)
	v_add_f64_e32 v[14:15], v[8:9], v[10:11]
	v_add_f64_e32 v[8:9], v[58:59], v[68:69]
	v_fma_f64 v[16:17], v[8:9], -0.5, v[4:5]
	v_add_f64_e32 v[8:9], v[56:57], v[70:71]
	s_delay_alu instid0(VALU_DEP_1) | instskip(NEXT) | instid1(VALU_DEP_3)
	v_fma_f64 v[18:19], v[8:9], -0.5, v[6:7]
	v_fma_f64 v[8:9], v[20:21], s[20:21], v[16:17]
	v_fma_f64 v[16:17], v[20:21], s[22:23], v[16:17]
	s_delay_alu instid0(VALU_DEP_3) | instskip(SKIP_1) | instid1(VALU_DEP_4)
	v_fma_f64 v[10:11], v[24:25], s[22:23], v[18:19]
	v_fma_f64 v[18:19], v[24:25], s[20:21], v[18:19]
	;; [unrolled: 1-line block ×3, first 2 shown]
	s_delay_alu instid0(VALU_DEP_4) | instskip(NEXT) | instid1(VALU_DEP_4)
	v_fma_f64 v[16:17], v[22:23], s[16:17], v[16:17]
	v_fma_f64 v[10:11], v[26:27], s[16:17], v[10:11]
	s_delay_alu instid0(VALU_DEP_4) | instskip(NEXT) | instid1(VALU_DEP_4)
	v_fma_f64 v[18:19], v[26:27], s[18:19], v[18:19]
	v_fma_f64 v[8:9], v[12:13], s[14:15], v[8:9]
	s_delay_alu instid0(VALU_DEP_4) | instskip(SKIP_4) | instid1(VALU_DEP_4)
	v_fma_f64 v[12:13], v[12:13], s[14:15], v[16:17]
	v_add_f64_e32 v[16:17], v[62:63], v[66:67]
	v_fma_f64 v[10:11], v[14:15], s[14:15], v[10:11]
	v_fma_f64 v[14:15], v[14:15], s[14:15], v[18:19]
	v_add_f64_e32 v[18:19], v[64:65], v[60:61]
	v_fma_f64 v[16:17], v[16:17], -0.5, v[4:5]
	v_add_f64_e32 v[4:5], v[4:5], v[58:59]
	s_delay_alu instid0(VALU_DEP_3) | instskip(SKIP_1) | instid1(VALU_DEP_4)
	v_fma_f64 v[18:19], v[18:19], -0.5, v[6:7]
	v_add_f64_e32 v[6:7], v[6:7], v[56:57]
	v_fma_f64 v[36:37], v[22:23], s[22:23], v[16:17]
	v_fma_f64 v[16:17], v[22:23], s[20:21], v[16:17]
	v_add_f64_e32 v[4:5], v[4:5], v[62:63]
	v_fma_f64 v[22:23], v[26:27], s[20:21], v[18:19]
	v_fma_f64 v[18:19], v[26:27], s[22:23], v[18:19]
	v_add_f64_e32 v[26:27], v[28:29], v[32:33]
	v_add_f64_e32 v[28:29], v[30:31], v[34:35]
	;; [unrolled: 1-line block ×4, first 2 shown]
	v_fma_f64 v[30:31], v[20:21], s[18:19], v[36:37]
	v_fma_f64 v[20:21], v[20:21], s[16:17], v[16:17]
	;; [unrolled: 1-line block ×4, first 2 shown]
	v_add_f64_e32 v[6:7], v[6:7], v[60:61]
	v_add_f64_e32 v[4:5], v[4:5], v[68:69]
	v_fma_f64 v[16:17], v[26:27], s[14:15], v[30:31]
	v_fma_f64 v[20:21], v[26:27], s[14:15], v[20:21]
	v_add_f64_e64 v[26:27], v[40:41], -v[46:47]
	v_add_f64_e64 v[30:31], v[54:55], -v[48:49]
	v_fma_f64 v[18:19], v[28:29], s[14:15], v[22:23]
	v_fma_f64 v[22:23], v[28:29], s[14:15], v[24:25]
	scratch_load_b32 v24, off, off offset:888 th:TH_LOAD_LU ; 4-byte Folded Reload
	v_add_f64_e64 v[28:29], v[52:53], -v[50:51]
	v_add_f64_e32 v[6:7], v[6:7], v[70:71]
	s_wait_loadcnt 0x0
	ds_store_b128 v24, v[4:7]
	ds_store_b128 v24, v[16:19] offset:160
	ds_store_b128 v24, v[8:11] offset:320
	ds_store_b128 v24, v[12:15] offset:480
	ds_store_b128 v24, v[20:23] offset:640
	v_add_f64_e64 v[4:5], v[44:45], -v[42:43]
	v_add_f64_e64 v[6:7], v[50:51], -v[52:53]
	;; [unrolled: 1-line block ×7, first 2 shown]
	v_add_f64_e32 v[8:9], v[4:5], v[6:7]
	v_add_f64_e64 v[4:5], v[46:47], -v[40:41]
	v_add_f64_e64 v[6:7], v[48:49], -v[54:55]
	s_delay_alu instid0(VALU_DEP_1) | instskip(SKIP_1) | instid1(VALU_DEP_1)
	v_add_f64_e32 v[10:11], v[4:5], v[6:7]
	v_add_f64_e32 v[4:5], v[42:43], v[52:53]
	v_fma_f64 v[12:13], v[4:5], -0.5, v[0:1]
	v_add_f64_e32 v[4:5], v[40:41], v[54:55]
	s_delay_alu instid0(VALU_DEP_1) | instskip(NEXT) | instid1(VALU_DEP_3)
	v_fma_f64 v[14:15], v[4:5], -0.5, v[2:3]
	v_fma_f64 v[4:5], v[16:17], s[20:21], v[12:13]
	v_fma_f64 v[12:13], v[16:17], s[22:23], v[12:13]
	s_delay_alu instid0(VALU_DEP_3) | instskip(SKIP_1) | instid1(VALU_DEP_4)
	v_fma_f64 v[6:7], v[20:21], s[22:23], v[14:15]
	v_fma_f64 v[14:15], v[20:21], s[20:21], v[14:15]
	;; [unrolled: 1-line block ×3, first 2 shown]
	s_delay_alu instid0(VALU_DEP_4) | instskip(NEXT) | instid1(VALU_DEP_4)
	v_fma_f64 v[12:13], v[18:19], s[16:17], v[12:13]
	v_fma_f64 v[6:7], v[22:23], s[16:17], v[6:7]
	s_delay_alu instid0(VALU_DEP_4) | instskip(NEXT) | instid1(VALU_DEP_4)
	v_fma_f64 v[14:15], v[22:23], s[18:19], v[14:15]
	v_fma_f64 v[4:5], v[8:9], s[14:15], v[4:5]
	s_delay_alu instid0(VALU_DEP_4) | instskip(SKIP_4) | instid1(VALU_DEP_4)
	v_fma_f64 v[8:9], v[8:9], s[14:15], v[12:13]
	v_add_f64_e32 v[12:13], v[44:45], v[50:51]
	v_fma_f64 v[6:7], v[10:11], s[14:15], v[6:7]
	v_fma_f64 v[10:11], v[10:11], s[14:15], v[14:15]
	v_add_f64_e32 v[14:15], v[46:47], v[48:49]
	v_fma_f64 v[12:13], v[12:13], -0.5, v[0:1]
	v_add_f64_e32 v[0:1], v[0:1], v[42:43]
	s_delay_alu instid0(VALU_DEP_3) | instskip(SKIP_1) | instid1(VALU_DEP_4)
	v_fma_f64 v[14:15], v[14:15], -0.5, v[2:3]
	v_add_f64_e32 v[2:3], v[2:3], v[40:41]
	v_fma_f64 v[32:33], v[18:19], s[22:23], v[12:13]
	v_fma_f64 v[12:13], v[18:19], s[20:21], v[12:13]
	v_add_f64_e32 v[0:1], v[0:1], v[44:45]
	v_fma_f64 v[18:19], v[22:23], s[20:21], v[14:15]
	v_fma_f64 v[14:15], v[22:23], s[22:23], v[14:15]
	v_add_f64_e32 v[22:23], v[24:25], v[28:29]
	v_add_f64_e32 v[24:25], v[26:27], v[30:31]
	;; [unrolled: 1-line block ×4, first 2 shown]
	v_fma_f64 v[26:27], v[16:17], s[18:19], v[32:33]
	v_fma_f64 v[16:17], v[16:17], s[16:17], v[12:13]
	;; [unrolled: 1-line block ×4, first 2 shown]
	v_add_f64_e32 v[2:3], v[2:3], v[48:49]
	v_add_f64_e32 v[0:1], v[0:1], v[52:53]
	v_fma_f64 v[12:13], v[22:23], s[14:15], v[26:27]
	v_fma_f64 v[16:17], v[22:23], s[14:15], v[16:17]
	;; [unrolled: 1-line block ×4, first 2 shown]
	scratch_load_b32 v20, off, off offset:884 th:TH_LOAD_LU ; 4-byte Folded Reload
	v_add_f64_e32 v[2:3], v[2:3], v[54:55]
	s_wait_loadcnt 0x0
	ds_store_b128 v20, v[0:3]
	ds_store_b128 v20, v[12:15] offset:160
	ds_store_b128 v20, v[4:7] offset:320
	;; [unrolled: 1-line block ×4, first 2 shown]
	global_wb scope:SCOPE_SE
	s_wait_dscnt 0x0
	s_barrier_signal -1
	s_barrier_wait -1
	global_inv scope:SCOPE_SE
	s_clause 0x2
	scratch_load_b128 v[6:9], off, off offset:852 th:TH_LOAD_LU
	scratch_load_b128 v[14:17], off, off offset:836 th:TH_LOAD_LU
	;; [unrolled: 1-line block ×3, first 2 shown]
	ds_load_b128 v[2:5], v116 offset:21600
	s_wait_loadcnt_dscnt 0x200
	v_mul_f64_e32 v[0:1], v[8:9], v[4:5]
	s_delay_alu instid0(VALU_DEP_1) | instskip(SKIP_1) | instid1(VALU_DEP_1)
	v_fma_f64 v[0:1], v[6:7], v[2:3], v[0:1]
	v_mul_f64_e32 v[2:3], v[8:9], v[2:3]
	v_fma_f64 v[2:3], v[6:7], v[4:5], -v[2:3]
	ds_load_b128 v[6:9], v116 offset:43200
	s_wait_loadcnt_dscnt 0x0
	v_mul_f64_e32 v[4:5], v[12:13], v[8:9]
	s_delay_alu instid0(VALU_DEP_1) | instskip(SKIP_1) | instid1(VALU_DEP_1)
	v_fma_f64 v[4:5], v[10:11], v[6:7], v[4:5]
	v_mul_f64_e32 v[6:7], v[12:13], v[6:7]
	v_fma_f64 v[6:7], v[10:11], v[8:9], -v[6:7]
	ds_load_b128 v[8:11], v116 offset:23760
	s_wait_dscnt 0x0
	v_mul_f64_e32 v[12:13], v[16:17], v[10:11]
	s_delay_alu instid0(VALU_DEP_1) | instskip(SKIP_1) | instid1(VALU_DEP_1)
	v_fma_f64 v[88:89], v[14:15], v[8:9], v[12:13]
	v_mul_f64_e32 v[8:9], v[16:17], v[8:9]
	v_fma_f64 v[90:91], v[14:15], v[10:11], -v[8:9]
	scratch_load_b128 v[14:17], off, off offset:676 th:TH_LOAD_LU ; 16-byte Folded Reload
	ds_load_b128 v[8:11], v116 offset:45360
	s_wait_loadcnt_dscnt 0x0
	v_mul_f64_e32 v[12:13], v[16:17], v[10:11]
	s_delay_alu instid0(VALU_DEP_1) | instskip(SKIP_1) | instid1(VALU_DEP_1)
	v_fma_f64 v[92:93], v[14:15], v[8:9], v[12:13]
	v_mul_f64_e32 v[8:9], v[16:17], v[8:9]
	v_fma_f64 v[94:95], v[14:15], v[10:11], -v[8:9]
	scratch_load_b128 v[14:17], off, off offset:804 th:TH_LOAD_LU ; 16-byte Folded Reload
	ds_load_b128 v[8:11], v116 offset:25920
	s_wait_loadcnt_dscnt 0x0
	;; [unrolled: 8-line block ×17, first 2 shown]
	v_mul_f64_e32 v[12:13], v[16:17], v[10:11]
	s_delay_alu instid0(VALU_DEP_1) | instskip(SKIP_2) | instid1(VALU_DEP_2)
	v_fma_f64 v[30:31], v[14:15], v[8:9], v[12:13]
	v_mul_f64_e32 v[8:9], v[16:17], v[8:9]
	v_add_f64_e32 v[12:13], v[0:1], v[4:5]
	v_fma_f64 v[36:37], v[14:15], v[10:11], -v[8:9]
	v_add_f64_e32 v[14:15], v[2:3], v[6:7]
	ds_load_b128 v[8:11], v116
	s_wait_dscnt 0x0
	v_fma_f64 v[12:13], v[12:13], -0.5, v[8:9]
	v_add_f64_e32 v[8:9], v[8:9], v[0:1]
	v_add_f64_e64 v[0:1], v[0:1], -v[4:5]
	v_fma_f64 v[14:15], v[14:15], -0.5, v[10:11]
	v_add_f64_e32 v[10:11], v[10:11], v[2:3]
	v_add_f64_e64 v[2:3], v[2:3], -v[6:7]
	v_add_f64_e32 v[96:97], v[8:9], v[4:5]
	s_delay_alu instid0(VALU_DEP_4) | instskip(NEXT) | instid1(VALU_DEP_4)
	v_fma_f64 v[102:103], v[0:1], s[12:13], v[14:15]
	v_add_f64_e32 v[98:99], v[10:11], v[6:7]
	s_delay_alu instid0(VALU_DEP_4)
	v_fma_f64 v[100:101], v[2:3], s[2:3], v[12:13]
	v_fma_f64 v[104:105], v[2:3], s[12:13], v[12:13]
	v_fma_f64 v[106:107], v[0:1], s[2:3], v[14:15]
	ds_load_b128 v[108:111], v116 offset:2160
	ds_load_b128 v[112:115], v116 offset:4320
	;; [unrolled: 1-line block ×9, first 2 shown]
	global_wb scope:SCOPE_SE
	s_wait_dscnt 0x0
	s_barrier_signal -1
	s_barrier_wait -1
	global_inv scope:SCOPE_SE
	scratch_load_b32 v121, off, off offset:560 th:TH_LOAD_LU ; 4-byte Folded Reload
	s_wait_loadcnt 0x0
	ds_store_b128 v121, v[96:99]
	ds_store_b128 v121, v[100:103] offset:800
	ds_store_b128 v121, v[104:107] offset:1600
	v_add_f64_e32 v[96:97], v[88:89], v[92:93]
	v_add_f64_e32 v[102:103], v[108:109], v[88:89]
	s_delay_alu instid0(VALU_DEP_2) | instskip(SKIP_1) | instid1(VALU_DEP_1)
	v_fma_f64 v[98:99], v[96:97], -0.5, v[108:109]
	v_add_f64_e32 v[96:97], v[90:91], v[94:95]
	v_fma_f64 v[100:101], v[96:97], -0.5, v[110:111]
	v_add_f64_e32 v[96:97], v[110:111], v[90:91]
	v_add_f64_e64 v[90:91], v[90:91], -v[94:95]
	s_delay_alu instid0(VALU_DEP_2) | instskip(SKIP_2) | instid1(VALU_DEP_4)
	v_add_f64_e32 v[96:97], v[96:97], v[94:95]
	v_add_f64_e32 v[94:95], v[102:103], v[92:93]
	v_add_f64_e64 v[92:93], v[88:89], -v[92:93]
	v_fma_f64 v[88:89], v[90:91], s[2:3], v[98:99]
	v_fma_f64 v[98:99], v[90:91], s[12:13], v[98:99]
	s_delay_alu instid0(VALU_DEP_3)
	v_fma_f64 v[90:91], v[92:93], s[12:13], v[100:101]
	v_fma_f64 v[100:101], v[92:93], s[2:3], v[100:101]
	scratch_load_b32 v92, off, off offset:556 th:TH_LOAD_LU ; 4-byte Folded Reload
	s_wait_loadcnt 0x0
	ds_store_b128 v92, v[94:97]
	ds_store_b128 v92, v[88:91] offset:800
	ds_store_b128 v92, v[98:101] offset:1600
	v_add_f64_e32 v[88:89], v[76:77], v[82:83]
	v_add_f64_e32 v[94:95], v[112:113], v[76:77]
	v_add_f64_e64 v[76:77], v[76:77], -v[82:83]
	v_add_f64_e64 v[96:97], v[80:81], -v[86:87]
	s_delay_alu instid0(VALU_DEP_4) | instskip(SKIP_1) | instid1(VALU_DEP_1)
	v_fma_f64 v[90:91], v[88:89], -0.5, v[112:113]
	v_add_f64_e32 v[88:89], v[80:81], v[86:87]
	v_fma_f64 v[92:93], v[88:89], -0.5, v[114:115]
	v_add_f64_e32 v[88:89], v[114:115], v[80:81]
	s_delay_alu instid0(VALU_DEP_4) | instskip(SKIP_1) | instid1(VALU_DEP_3)
	v_fma_f64 v[80:81], v[96:97], s[2:3], v[90:91]
	v_fma_f64 v[90:91], v[96:97], s[12:13], v[90:91]
	v_add_f64_e32 v[88:89], v[88:89], v[86:87]
	v_add_f64_e32 v[86:87], v[94:95], v[82:83]
	v_fma_f64 v[82:83], v[76:77], s[12:13], v[92:93]
	v_fma_f64 v[92:93], v[76:77], s[2:3], v[92:93]
	scratch_load_b32 v76, off, off offset:552 th:TH_LOAD_LU ; 4-byte Folded Reload
	s_wait_loadcnt 0x0
	ds_store_b128 v76, v[86:89]
	ds_store_b128 v76, v[80:83] offset:800
	ds_store_b128 v76, v[90:93] offset:1600
	v_add_f64_e32 v[76:77], v[72:73], v[78:79]
	v_add_f64_e32 v[82:83], v[117:118], v[72:73]
	v_add_f64_e64 v[88:89], v[74:75], -v[84:85]
	v_add_f64_e64 v[72:73], v[72:73], -v[78:79]
	s_delay_alu instid0(VALU_DEP_4) | instskip(SKIP_1) | instid1(VALU_DEP_1)
	v_fma_f64 v[80:81], v[76:77], -0.5, v[117:118]
	v_add_f64_e32 v[76:77], v[74:75], v[84:85]
	v_fma_f64 v[86:87], v[76:77], -0.5, v[119:120]
	v_add_f64_e32 v[76:77], v[119:120], v[74:75]
	v_add_f64_e32 v[74:75], v[82:83], v[78:79]
	v_fma_f64 v[78:79], v[88:89], s[2:3], v[80:81]
	v_fma_f64 v[82:83], v[88:89], s[12:13], v[80:81]
	;; [unrolled: 1-line block ×3, first 2 shown]
	v_add_f64_e32 v[76:77], v[76:77], v[84:85]
	v_fma_f64 v[84:85], v[72:73], s[2:3], v[86:87]
	scratch_load_b32 v72, off, off offset:548 th:TH_LOAD_LU ; 4-byte Folded Reload
	s_wait_loadcnt 0x0
	ds_store_b128 v72, v[74:77]
	ds_store_b128 v72, v[78:81] offset:800
	ds_store_b128 v72, v[82:85] offset:1600
	v_add_f64_e32 v[72:73], v[60:61], v[66:67]
	v_add_f64_e32 v[74:75], v[64:65], v[70:71]
	v_add_f64_e64 v[76:77], v[64:65], -v[70:71]
	s_delay_alu instid0(VALU_DEP_3) | instskip(NEXT) | instid1(VALU_DEP_3)
	v_fma_f64 v[72:73], v[72:73], -0.5, v[20:21]
	v_fma_f64 v[74:75], v[74:75], -0.5, v[22:23]
	v_add_f64_e32 v[22:23], v[22:23], v[64:65]
	v_add_f64_e32 v[20:21], v[20:21], v[60:61]
	v_add_f64_e64 v[60:61], v[60:61], -v[66:67]
	v_fma_f64 v[64:65], v[76:77], s[2:3], v[72:73]
	s_delay_alu instid0(VALU_DEP_4) | instskip(NEXT) | instid1(VALU_DEP_4)
	v_add_f64_e32 v[22:23], v[22:23], v[70:71]
	v_add_f64_e32 v[20:21], v[20:21], v[66:67]
	v_fma_f64 v[70:71], v[76:77], s[12:13], v[72:73]
	v_fma_f64 v[66:67], v[60:61], s[12:13], v[74:75]
	v_fma_f64 v[72:73], v[60:61], s[2:3], v[74:75]
	scratch_load_b32 v60, off, off offset:544 th:TH_LOAD_LU ; 4-byte Folded Reload
	s_wait_loadcnt 0x0
	ds_store_b128 v60, v[20:23]
	ds_store_b128 v60, v[64:67] offset:800
	ds_store_b128 v60, v[70:73] offset:1600
	v_add_f64_e32 v[20:21], v[56:57], v[62:63]
	s_delay_alu instid0(VALU_DEP_1) | instskip(SKIP_2) | instid1(VALU_DEP_2)
	v_fma_f64 v[22:23], v[20:21], -0.5, v[16:17]
	v_add_f64_e32 v[20:21], v[58:59], v[68:69]
	v_add_f64_e32 v[16:17], v[16:17], v[56:57]
	v_fma_f64 v[60:61], v[20:21], -0.5, v[18:19]
	v_add_f64_e32 v[18:19], v[18:19], v[58:59]
	v_add_f64_e64 v[58:59], v[58:59], -v[68:69]
	s_delay_alu instid0(VALU_DEP_4) | instskip(SKIP_1) | instid1(VALU_DEP_4)
	v_add_f64_e32 v[16:17], v[16:17], v[62:63]
	v_add_f64_e64 v[62:63], v[56:57], -v[62:63]
	v_add_f64_e32 v[18:19], v[18:19], v[68:69]
	s_delay_alu instid0(VALU_DEP_4) | instskip(SKIP_1) | instid1(VALU_DEP_4)
	v_fma_f64 v[20:21], v[58:59], s[2:3], v[22:23]
	v_fma_f64 v[56:57], v[58:59], s[12:13], v[22:23]
	;; [unrolled: 1-line block ×4, first 2 shown]
	scratch_load_b32 v60, off, off offset:540 th:TH_LOAD_LU ; 4-byte Folded Reload
	s_wait_loadcnt 0x0
	ds_store_b128 v60, v[16:19]
	ds_store_b128 v60, v[20:23] offset:800
	ds_store_b128 v60, v[56:59] offset:1600
	v_add_f64_e32 v[16:17], v[44:45], v[50:51]
	v_add_f64_e64 v[20:21], v[48:49], -v[54:55]
	s_delay_alu instid0(VALU_DEP_2) | instskip(SKIP_3) | instid1(VALU_DEP_3)
	v_fma_f64 v[18:19], v[16:17], -0.5, v[12:13]
	v_add_f64_e32 v[16:17], v[48:49], v[54:55]
	v_add_f64_e32 v[12:13], v[12:13], v[44:45]
	v_add_f64_e64 v[44:45], v[44:45], -v[50:51]
	v_fma_f64 v[22:23], v[16:17], -0.5, v[14:15]
	v_fma_f64 v[16:17], v[20:21], s[2:3], v[18:19]
	v_fma_f64 v[20:21], v[20:21], s[12:13], v[18:19]
	v_add_f64_e32 v[14:15], v[14:15], v[48:49]
	v_add_f64_e32 v[12:13], v[12:13], v[50:51]
	v_fma_f64 v[18:19], v[44:45], s[12:13], v[22:23]
	v_fma_f64 v[22:23], v[44:45], s[2:3], v[22:23]
	scratch_load_b32 v44, off, off offset:536 th:TH_LOAD_LU ; 4-byte Folded Reload
	v_add_f64_e32 v[14:15], v[14:15], v[54:55]
	s_wait_loadcnt 0x0
	ds_store_b128 v44, v[12:15]
	ds_store_b128 v44, v[16:19] offset:800
	ds_store_b128 v44, v[20:23] offset:1600
	v_add_f64_e32 v[12:13], v[40:41], v[46:47]
	v_add_f64_e64 v[16:17], v[42:43], -v[52:53]
	v_add_f64_e64 v[20:21], v[40:41], -v[46:47]
	s_delay_alu instid0(VALU_DEP_3) | instskip(SKIP_2) | instid1(VALU_DEP_2)
	v_fma_f64 v[14:15], v[12:13], -0.5, v[8:9]
	v_add_f64_e32 v[12:13], v[42:43], v[52:53]
	v_add_f64_e32 v[8:9], v[8:9], v[40:41]
	v_fma_f64 v[18:19], v[12:13], -0.5, v[10:11]
	s_delay_alu instid0(VALU_DEP_4)
	v_fma_f64 v[12:13], v[16:17], s[2:3], v[14:15]
	v_fma_f64 v[16:17], v[16:17], s[12:13], v[14:15]
	v_add_f64_e32 v[10:11], v[10:11], v[42:43]
	v_add_f64_e32 v[8:9], v[8:9], v[46:47]
	v_fma_f64 v[14:15], v[20:21], s[12:13], v[18:19]
	v_fma_f64 v[18:19], v[20:21], s[2:3], v[18:19]
	scratch_load_b32 v20, off, off offset:532 th:TH_LOAD_LU ; 4-byte Folded Reload
	v_add_f64_e32 v[10:11], v[10:11], v[52:53]
	s_wait_loadcnt 0x0
	ds_store_b128 v20, v[8:11]
	ds_store_b128 v20, v[12:15] offset:800
	ds_store_b128 v20, v[16:19] offset:1600
	v_add_f64_e32 v[8:9], v[28:29], v[34:35]
	v_add_f64_e64 v[12:13], v[32:33], -v[38:39]
	v_add_f64_e64 v[16:17], v[28:29], -v[34:35]
	s_delay_alu instid0(VALU_DEP_3) | instskip(SKIP_2) | instid1(VALU_DEP_2)
	v_fma_f64 v[10:11], v[8:9], -0.5, v[4:5]
	v_add_f64_e32 v[8:9], v[32:33], v[38:39]
	v_add_f64_e32 v[4:5], v[4:5], v[28:29]
	v_fma_f64 v[14:15], v[8:9], -0.5, v[6:7]
	s_delay_alu instid0(VALU_DEP_4)
	;; [unrolled: 21-line block ×3, first 2 shown]
	v_fma_f64 v[4:5], v[8:9], s[2:3], v[6:7]
	v_fma_f64 v[8:9], v[8:9], s[12:13], v[6:7]
	v_add_f64_e32 v[2:3], v[2:3], v[26:27]
	v_add_f64_e32 v[0:1], v[0:1], v[30:31]
	v_fma_f64 v[6:7], v[12:13], s[12:13], v[10:11]
	v_fma_f64 v[10:11], v[12:13], s[2:3], v[10:11]
	scratch_load_b32 v12, off, off offset:524 th:TH_LOAD_LU ; 4-byte Folded Reload
	v_add_f64_e32 v[2:3], v[2:3], v[36:37]
	s_wait_loadcnt 0x0
	ds_store_b128 v12, v[0:3]
	ds_store_b128 v12, v[4:7] offset:800
	ds_store_b128 v12, v[8:11] offset:1600
	global_wb scope:SCOPE_SE
	s_wait_dscnt 0x0
	s_barrier_signal -1
	s_barrier_wait -1
	global_inv scope:SCOPE_SE
	s_clause 0x4
	scratch_load_b128 v[6:9], off, off offset:492 th:TH_LOAD_LU
	scratch_load_b128 v[10:13], off, off offset:508 th:TH_LOAD_LU
	;; [unrolled: 1-line block ×5, first 2 shown]
	ds_load_b128 v[2:5], v116 offset:21600
	s_clause 0x1
	scratch_load_b128 v[22:25], off, off offset:1472 th:TH_LOAD_LU
	scratch_load_b128 v[80:83], off, off offset:1456 th:TH_LOAD_LU
	s_wait_loadcnt_dscnt 0x600
	v_mul_f64_e32 v[0:1], v[8:9], v[4:5]
	s_delay_alu instid0(VALU_DEP_1) | instskip(SKIP_1) | instid1(VALU_DEP_1)
	v_fma_f64 v[0:1], v[6:7], v[2:3], v[0:1]
	v_mul_f64_e32 v[2:3], v[8:9], v[2:3]
	v_fma_f64 v[2:3], v[6:7], v[4:5], -v[2:3]
	ds_load_b128 v[6:9], v116 offset:43200
	s_wait_loadcnt_dscnt 0x500
	v_mul_f64_e32 v[4:5], v[12:13], v[8:9]
	s_delay_alu instid0(VALU_DEP_1) | instskip(SKIP_1) | instid1(VALU_DEP_1)
	v_fma_f64 v[4:5], v[10:11], v[6:7], v[4:5]
	v_mul_f64_e32 v[6:7], v[12:13], v[6:7]
	v_fma_f64 v[6:7], v[10:11], v[8:9], -v[6:7]
	ds_load_b128 v[8:11], v116 offset:23760
	;; [unrolled: 7-line block ×3, first 2 shown]
	s_wait_loadcnt_dscnt 0x300
	v_mul_f64_e32 v[16:17], v[20:21], v[10:11]
	s_delay_alu instid0(VALU_DEP_1) | instskip(SKIP_1) | instid1(VALU_DEP_1)
	v_fma_f64 v[96:97], v[18:19], v[8:9], v[16:17]
	v_mul_f64_e32 v[8:9], v[20:21], v[8:9]
	v_fma_f64 v[92:93], v[18:19], v[10:11], -v[8:9]
	scratch_load_b128 v[18:21], off, off offset:1664 th:TH_LOAD_LU ; 16-byte Folded Reload
	ds_load_b128 v[8:11], v116 offset:25920
	s_wait_loadcnt_dscnt 0x0
	v_mul_f64_e32 v[16:17], v[20:21], v[10:11]
	s_delay_alu instid0(VALU_DEP_1) | instskip(SKIP_1) | instid1(VALU_DEP_1)
	v_fma_f64 v[68:69], v[18:19], v[8:9], v[16:17]
	v_mul_f64_e32 v[8:9], v[20:21], v[8:9]
	v_fma_f64 v[72:73], v[18:19], v[10:11], -v[8:9]
	scratch_load_b128 v[18:21], off, off offset:1680 th:TH_LOAD_LU ; 16-byte Folded Reload
	ds_load_b128 v[8:11], v116 offset:47520
	;; [unrolled: 8-line block ×12, first 2 shown]
	s_wait_loadcnt_dscnt 0x0
	v_mul_f64_e32 v[16:17], v[20:21], v[10:11]
	s_delay_alu instid0(VALU_DEP_1) | instskip(SKIP_1) | instid1(VALU_DEP_1)
	v_fma_f64 v[38:39], v[18:19], v[8:9], v[16:17]
	v_mul_f64_e32 v[8:9], v[20:21], v[8:9]
	v_fma_f64 v[44:45], v[18:19], v[10:11], -v[8:9]
	ds_load_b128 v[8:11], v116 offset:38880
	s_wait_dscnt 0x0
	v_mul_f64_e32 v[16:17], v[24:25], v[10:11]
	s_delay_alu instid0(VALU_DEP_1) | instskip(SKIP_1) | instid1(VALU_DEP_1)
	v_fma_f64 v[20:21], v[22:23], v[8:9], v[16:17]
	v_mul_f64_e32 v[8:9], v[24:25], v[8:9]
	v_fma_f64 v[24:25], v[22:23], v[10:11], -v[8:9]
	ds_load_b128 v[8:11], v116 offset:60480
	s_wait_dscnt 0x0
	;; [unrolled: 7-line block ×3, first 2 shown]
	v_mul_f64_e32 v[16:17], v[82:83], v[10:11]
	s_delay_alu instid0(VALU_DEP_1) | instskip(SKIP_1) | instid1(VALU_DEP_1)
	v_fma_f64 v[16:17], v[80:81], v[8:9], v[16:17]
	v_mul_f64_e32 v[8:9], v[82:83], v[8:9]
	v_fma_f64 v[18:19], v[80:81], v[10:11], -v[8:9]
	scratch_load_b128 v[80:83], off, off offset:1424 th:TH_LOAD_LU ; 16-byte Folded Reload
	ds_load_b128 v[8:11], v116 offset:62640
	s_wait_loadcnt_dscnt 0x0
	v_mul_f64_e32 v[22:23], v[82:83], v[10:11]
	s_delay_alu instid0(VALU_DEP_1) | instskip(SKIP_1) | instid1(VALU_DEP_1)
	v_fma_f64 v[22:23], v[80:81], v[8:9], v[22:23]
	v_mul_f64_e32 v[8:9], v[82:83], v[8:9]
	v_fma_f64 v[28:29], v[80:81], v[10:11], -v[8:9]
	v_add_f64_e32 v[80:81], v[0:1], v[4:5]
	ds_load_b128 v[8:11], v116
	s_wait_dscnt 0x0
	v_fma_f64 v[86:87], v[80:81], -0.5, v[8:9]
	v_add_f64_e32 v[80:81], v[2:3], v[6:7]
	v_add_f64_e32 v[8:9], v[8:9], v[0:1]
	v_add_f64_e64 v[0:1], v[0:1], -v[4:5]
	s_delay_alu instid0(VALU_DEP_3)
	v_fma_f64 v[90:91], v[80:81], -0.5, v[10:11]
	v_add_f64_e32 v[10:11], v[10:11], v[2:3]
	v_add_f64_e64 v[2:3], v[2:3], -v[6:7]
	v_add_f64_e32 v[80:81], v[8:9], v[4:5]
	v_add_f64_e32 v[4:5], v[12:13], v[96:97]
	v_add_f64_e64 v[8:9], v[14:15], -v[92:93]
	v_add_f64_e32 v[82:83], v[10:11], v[6:7]
	v_add_f64_e32 v[6:7], v[14:15], v[92:93]
	v_fma_f64 v[84:85], v[2:3], s[2:3], v[86:87]
	v_fma_f64 v[88:89], v[2:3], s[12:13], v[86:87]
	;; [unrolled: 1-line block ×4, first 2 shown]
	ds_load_b128 v[0:3], v116 offset:2160
	s_wait_dscnt 0x0
	v_fma_f64 v[4:5], v[4:5], -0.5, v[0:1]
	v_add_f64_e32 v[0:1], v[0:1], v[12:13]
	v_fma_f64 v[6:7], v[6:7], -0.5, v[2:3]
	v_add_f64_e32 v[2:3], v[2:3], v[14:15]
	s_delay_alu instid0(VALU_DEP_4) | instskip(NEXT) | instid1(VALU_DEP_2)
	v_fma_f64 v[100:101], v[8:9], s[12:13], v[4:5]
	v_add_f64_e32 v[94:95], v[2:3], v[92:93]
	v_add_f64_e32 v[92:93], v[0:1], v[96:97]
	v_add_f64_e64 v[0:1], v[12:13], -v[96:97]
	v_fma_f64 v[96:97], v[8:9], s[2:3], v[4:5]
	s_delay_alu instid0(VALU_DEP_2)
	v_fma_f64 v[98:99], v[0:1], s[12:13], v[6:7]
	v_fma_f64 v[102:103], v[0:1], s[2:3], v[6:7]
	ds_load_b128 v[104:107], v116 offset:4320
	ds_load_b128 v[108:111], v116 offset:6480
	;; [unrolled: 1-line block ×8, first 2 shown]
	global_wb scope:SCOPE_SE
	s_wait_dscnt 0x0
	s_barrier_signal -1
	s_barrier_wait -1
	global_inv scope:SCOPE_SE
	ds_store_b128 v116, v[80:83]
	ds_store_b128 v116, v[84:87] offset:2400
	ds_store_b128 v116, v[88:91] offset:4800
	scratch_load_b32 v80, off, off offset:1420 th:TH_LOAD_LU ; 4-byte Folded Reload
	s_wait_loadcnt 0x0
	ds_store_b128 v80, v[92:95]
	ds_store_b128 v80, v[96:99] offset:2400
	ds_store_b128 v80, v[100:103] offset:4800
	v_add_f64_e32 v[80:81], v[68:69], v[74:75]
	v_add_f64_e32 v[86:87], v[104:105], v[68:69]
	v_add_f64_e64 v[68:69], v[68:69], -v[74:75]
	v_add_f64_e64 v[88:89], v[72:73], -v[78:79]
	s_delay_alu instid0(VALU_DEP_4) | instskip(SKIP_1) | instid1(VALU_DEP_1)
	v_fma_f64 v[82:83], v[80:81], -0.5, v[104:105]
	v_add_f64_e32 v[80:81], v[72:73], v[78:79]
	v_fma_f64 v[84:85], v[80:81], -0.5, v[106:107]
	v_add_f64_e32 v[80:81], v[106:107], v[72:73]
	s_delay_alu instid0(VALU_DEP_4) | instskip(SKIP_1) | instid1(VALU_DEP_3)
	v_fma_f64 v[72:73], v[88:89], s[2:3], v[82:83]
	v_fma_f64 v[82:83], v[88:89], s[12:13], v[82:83]
	v_add_f64_e32 v[80:81], v[80:81], v[78:79]
	v_add_f64_e32 v[78:79], v[86:87], v[74:75]
	v_fma_f64 v[74:75], v[68:69], s[12:13], v[84:85]
	v_fma_f64 v[84:85], v[68:69], s[2:3], v[84:85]
	scratch_load_b32 v68, off, off offset:1416 th:TH_LOAD_LU ; 4-byte Folded Reload
	s_wait_loadcnt 0x0
	ds_store_b128 v68, v[78:81]
	ds_store_b128 v68, v[72:75] offset:2400
	ds_store_b128 v68, v[82:85] offset:4800
	v_add_f64_e32 v[68:69], v[64:65], v[70:71]
	v_add_f64_e32 v[74:75], v[108:109], v[64:65]
	v_add_f64_e64 v[80:81], v[66:67], -v[76:77]
	v_add_f64_e64 v[64:65], v[64:65], -v[70:71]
	s_delay_alu instid0(VALU_DEP_4) | instskip(SKIP_1) | instid1(VALU_DEP_1)
	v_fma_f64 v[72:73], v[68:69], -0.5, v[108:109]
	v_add_f64_e32 v[68:69], v[66:67], v[76:77]
	v_fma_f64 v[78:79], v[68:69], -0.5, v[110:111]
	v_add_f64_e32 v[68:69], v[110:111], v[66:67]
	v_add_f64_e32 v[66:67], v[74:75], v[70:71]
	v_fma_f64 v[70:71], v[80:81], s[2:3], v[72:73]
	v_fma_f64 v[74:75], v[80:81], s[12:13], v[72:73]
	;; [unrolled: 1-line block ×3, first 2 shown]
	v_add_f64_e32 v[68:69], v[68:69], v[76:77]
	v_fma_f64 v[76:77], v[64:65], s[2:3], v[78:79]
	scratch_load_b32 v64, off, off offset:1412 th:TH_LOAD_LU ; 4-byte Folded Reload
	s_wait_loadcnt 0x0
	ds_store_b128 v64, v[66:69]
	ds_store_b128 v64, v[70:73] offset:2400
	ds_store_b128 v64, v[74:77] offset:4800
	v_add_f64_e32 v[64:65], v[52:53], v[58:59]
	v_add_f64_e32 v[70:71], v[112:113], v[52:53]
	v_add_f64_e64 v[52:53], v[52:53], -v[58:59]
	v_add_f64_e64 v[72:73], v[56:57], -v[62:63]
	s_delay_alu instid0(VALU_DEP_4) | instskip(SKIP_1) | instid1(VALU_DEP_1)
	v_fma_f64 v[66:67], v[64:65], -0.5, v[112:113]
	v_add_f64_e32 v[64:65], v[56:57], v[62:63]
	v_fma_f64 v[68:69], v[64:65], -0.5, v[114:115]
	v_add_f64_e32 v[64:65], v[114:115], v[56:57]
	s_delay_alu instid0(VALU_DEP_4) | instskip(SKIP_1) | instid1(VALU_DEP_3)
	v_fma_f64 v[56:57], v[72:73], s[2:3], v[66:67]
	v_fma_f64 v[66:67], v[72:73], s[12:13], v[66:67]
	v_add_f64_e32 v[64:65], v[64:65], v[62:63]
	v_add_f64_e32 v[62:63], v[70:71], v[58:59]
	v_fma_f64 v[58:59], v[52:53], s[12:13], v[68:69]
	v_fma_f64 v[68:69], v[52:53], s[2:3], v[68:69]
	scratch_load_b32 v52, off, off offset:1408 th:TH_LOAD_LU ; 4-byte Folded Reload
	s_wait_loadcnt 0x0
	ds_store_b128 v52, v[62:65]
	ds_store_b128 v52, v[56:59] offset:2400
	ds_store_b128 v52, v[66:69] offset:4800
	v_add_f64_e32 v[52:53], v[48:49], v[54:55]
	v_add_f64_e32 v[58:59], v[117:118], v[48:49]
	v_add_f64_e64 v[64:65], v[50:51], -v[60:61]
	v_add_f64_e64 v[48:49], v[48:49], -v[54:55]
	s_delay_alu instid0(VALU_DEP_4) | instskip(SKIP_1) | instid1(VALU_DEP_1)
	v_fma_f64 v[56:57], v[52:53], -0.5, v[117:118]
	v_add_f64_e32 v[52:53], v[50:51], v[60:61]
	v_fma_f64 v[62:63], v[52:53], -0.5, v[119:120]
	v_add_f64_e32 v[52:53], v[119:120], v[50:51]
	v_add_f64_e32 v[50:51], v[58:59], v[54:55]
	v_fma_f64 v[54:55], v[64:65], s[2:3], v[56:57]
	v_fma_f64 v[58:59], v[64:65], s[12:13], v[56:57]
	;; [unrolled: 1-line block ×3, first 2 shown]
	v_add_f64_e32 v[52:53], v[52:53], v[60:61]
	v_fma_f64 v[60:61], v[48:49], s[2:3], v[62:63]
	scratch_load_b32 v48, off, off offset:1404 th:TH_LOAD_LU ; 4-byte Folded Reload
	s_wait_loadcnt 0x0
	ds_store_b128 v48, v[50:53]
	ds_store_b128 v48, v[54:57] offset:2400
	ds_store_b128 v48, v[58:61] offset:4800
	v_add_f64_e32 v[48:49], v[36:37], v[42:43]
	v_add_f64_e32 v[50:51], v[40:41], v[46:47]
	v_add_f64_e64 v[52:53], v[40:41], -v[46:47]
	s_delay_alu instid0(VALU_DEP_3) | instskip(NEXT) | instid1(VALU_DEP_3)
	v_fma_f64 v[48:49], v[48:49], -0.5, v[12:13]
	v_fma_f64 v[50:51], v[50:51], -0.5, v[14:15]
	v_add_f64_e32 v[14:15], v[14:15], v[40:41]
	v_add_f64_e32 v[12:13], v[12:13], v[36:37]
	v_add_f64_e64 v[36:37], v[36:37], -v[42:43]
	v_fma_f64 v[40:41], v[52:53], s[2:3], v[48:49]
	s_delay_alu instid0(VALU_DEP_4) | instskip(NEXT) | instid1(VALU_DEP_4)
	v_add_f64_e32 v[14:15], v[14:15], v[46:47]
	v_add_f64_e32 v[12:13], v[12:13], v[42:43]
	v_fma_f64 v[46:47], v[52:53], s[12:13], v[48:49]
	v_fma_f64 v[42:43], v[36:37], s[12:13], v[50:51]
	v_fma_f64 v[48:49], v[36:37], s[2:3], v[50:51]
	scratch_load_b32 v36, off, off offset:1400 th:TH_LOAD_LU ; 4-byte Folded Reload
	s_wait_loadcnt 0x0
	ds_store_b128 v36, v[12:15]
	ds_store_b128 v36, v[40:43] offset:2400
	ds_store_b128 v36, v[46:49] offset:4800
	v_add_f64_e32 v[12:13], v[32:33], v[38:39]
	s_delay_alu instid0(VALU_DEP_1) | instskip(SKIP_2) | instid1(VALU_DEP_2)
	v_fma_f64 v[14:15], v[12:13], -0.5, v[8:9]
	v_add_f64_e32 v[12:13], v[34:35], v[44:45]
	v_add_f64_e32 v[8:9], v[8:9], v[32:33]
	v_fma_f64 v[36:37], v[12:13], -0.5, v[10:11]
	v_add_f64_e32 v[10:11], v[10:11], v[34:35]
	v_add_f64_e64 v[34:35], v[34:35], -v[44:45]
	s_delay_alu instid0(VALU_DEP_4) | instskip(SKIP_1) | instid1(VALU_DEP_4)
	v_add_f64_e32 v[8:9], v[8:9], v[38:39]
	v_add_f64_e64 v[38:39], v[32:33], -v[38:39]
	v_add_f64_e32 v[10:11], v[10:11], v[44:45]
	s_delay_alu instid0(VALU_DEP_4) | instskip(SKIP_1) | instid1(VALU_DEP_4)
	v_fma_f64 v[12:13], v[34:35], s[2:3], v[14:15]
	v_fma_f64 v[32:33], v[34:35], s[12:13], v[14:15]
	v_fma_f64 v[14:15], v[38:39], s[12:13], v[36:37]
	v_fma_f64 v[34:35], v[38:39], s[2:3], v[36:37]
	scratch_load_b32 v36, off, off offset:1396 th:TH_LOAD_LU ; 4-byte Folded Reload
	s_wait_loadcnt 0x0
	ds_store_b128 v36, v[8:11]
	ds_store_b128 v36, v[12:15] offset:2400
	ds_store_b128 v36, v[32:35] offset:4800
	v_add_f64_e32 v[8:9], v[20:21], v[26:27]
	v_add_f64_e64 v[12:13], v[24:25], -v[30:31]
	s_delay_alu instid0(VALU_DEP_2) | instskip(SKIP_3) | instid1(VALU_DEP_3)
	v_fma_f64 v[10:11], v[8:9], -0.5, v[4:5]
	v_add_f64_e32 v[8:9], v[24:25], v[30:31]
	v_add_f64_e32 v[4:5], v[4:5], v[20:21]
	v_add_f64_e64 v[20:21], v[20:21], -v[26:27]
	v_fma_f64 v[14:15], v[8:9], -0.5, v[6:7]
	v_fma_f64 v[8:9], v[12:13], s[2:3], v[10:11]
	v_fma_f64 v[12:13], v[12:13], s[12:13], v[10:11]
	v_add_f64_e32 v[6:7], v[6:7], v[24:25]
	v_add_f64_e32 v[4:5], v[4:5], v[26:27]
	v_fma_f64 v[10:11], v[20:21], s[12:13], v[14:15]
	v_fma_f64 v[14:15], v[20:21], s[2:3], v[14:15]
	scratch_load_b32 v20, off, off offset:1392 th:TH_LOAD_LU ; 4-byte Folded Reload
	v_add_f64_e32 v[6:7], v[6:7], v[30:31]
	s_wait_loadcnt 0x0
	ds_store_b128 v20, v[4:7]
	ds_store_b128 v20, v[8:11] offset:2400
	ds_store_b128 v20, v[12:15] offset:4800
	v_add_f64_e32 v[4:5], v[16:17], v[22:23]
	v_add_f64_e64 v[8:9], v[18:19], -v[28:29]
	v_add_f64_e64 v[12:13], v[16:17], -v[22:23]
	s_delay_alu instid0(VALU_DEP_3) | instskip(SKIP_2) | instid1(VALU_DEP_2)
	v_fma_f64 v[6:7], v[4:5], -0.5, v[0:1]
	v_add_f64_e32 v[4:5], v[18:19], v[28:29]
	v_add_f64_e32 v[0:1], v[0:1], v[16:17]
	v_fma_f64 v[10:11], v[4:5], -0.5, v[2:3]
	s_delay_alu instid0(VALU_DEP_4)
	v_fma_f64 v[4:5], v[8:9], s[2:3], v[6:7]
	v_fma_f64 v[8:9], v[8:9], s[12:13], v[6:7]
	v_add_f64_e32 v[2:3], v[2:3], v[18:19]
	v_add_f64_e32 v[0:1], v[0:1], v[22:23]
	v_fma_f64 v[6:7], v[12:13], s[12:13], v[10:11]
	v_fma_f64 v[10:11], v[12:13], s[2:3], v[10:11]
	scratch_load_b32 v12, off, off offset:1388 th:TH_LOAD_LU ; 4-byte Folded Reload
	v_add_f64_e32 v[2:3], v[2:3], v[28:29]
	s_wait_loadcnt 0x0
	ds_store_b128 v12, v[0:3] offset:57600
	ds_store_b128 v12, v[4:7] offset:60000
	;; [unrolled: 1-line block ×3, first 2 shown]
	global_wb scope:SCOPE_SE
	s_wait_dscnt 0x0
	s_barrier_signal -1
	s_barrier_wait -1
	global_inv scope:SCOPE_SE
	s_clause 0x2
	scratch_load_b128 v[6:9], off, off offset:1356 th:TH_LOAD_LU
	scratch_load_b128 v[18:21], off, off offset:1340 th:TH_LOAD_LU
	;; [unrolled: 1-line block ×3, first 2 shown]
	ds_load_b128 v[2:5], v116 offset:21600
	s_wait_loadcnt_dscnt 0x200
	v_mul_f64_e32 v[0:1], v[8:9], v[4:5]
	s_delay_alu instid0(VALU_DEP_1) | instskip(SKIP_1) | instid1(VALU_DEP_1)
	v_fma_f64 v[0:1], v[6:7], v[2:3], v[0:1]
	v_mul_f64_e32 v[2:3], v[8:9], v[2:3]
	v_fma_f64 v[2:3], v[6:7], v[4:5], -v[2:3]
	ds_load_b128 v[6:9], v116 offset:43200
	s_wait_loadcnt_dscnt 0x0
	v_mul_f64_e32 v[4:5], v[12:13], v[8:9]
	s_delay_alu instid0(VALU_DEP_1) | instskip(SKIP_1) | instid1(VALU_DEP_1)
	v_fma_f64 v[4:5], v[10:11], v[6:7], v[4:5]
	v_mul_f64_e32 v[6:7], v[12:13], v[6:7]
	v_fma_f64 v[6:7], v[10:11], v[8:9], -v[6:7]
	ds_load_b128 v[8:11], v116 offset:23760
	s_wait_dscnt 0x0
	v_mul_f64_e32 v[12:13], v[20:21], v[10:11]
	s_delay_alu instid0(VALU_DEP_1)
	v_fma_f64 v[16:17], v[18:19], v[8:9], v[12:13]
	v_mul_f64_e32 v[8:9], v[20:21], v[8:9]
	scratch_load_b128 v[20:23], off, off offset:1292 th:TH_LOAD_LU ; 16-byte Folded Reload
	v_fma_f64 v[18:19], v[18:19], v[10:11], -v[8:9]
	ds_load_b128 v[8:11], v116 offset:45360
	s_wait_loadcnt_dscnt 0x0
	v_mul_f64_e32 v[12:13], v[22:23], v[10:11]
	s_delay_alu instid0(VALU_DEP_1) | instskip(SKIP_1) | instid1(VALU_DEP_1)
	v_fma_f64 v[76:77], v[20:21], v[8:9], v[12:13]
	v_mul_f64_e32 v[8:9], v[22:23], v[8:9]
	v_fma_f64 v[72:73], v[20:21], v[10:11], -v[8:9]
	scratch_load_b128 v[20:23], off, off offset:1308 th:TH_LOAD_LU ; 16-byte Folded Reload
	ds_load_b128 v[8:11], v116 offset:25920
	s_wait_loadcnt_dscnt 0x0
	v_mul_f64_e32 v[12:13], v[22:23], v[10:11]
	s_delay_alu instid0(VALU_DEP_1) | instskip(SKIP_1) | instid1(VALU_DEP_1)
	v_fma_f64 v[88:89], v[20:21], v[8:9], v[12:13]
	v_mul_f64_e32 v[8:9], v[22:23], v[8:9]
	v_fma_f64 v[84:85], v[20:21], v[10:11], -v[8:9]
	scratch_load_b128 v[20:23], off, off offset:1324 th:TH_LOAD_LU ; 16-byte Folded Reload
	;; [unrolled: 8-line block ×5, first 2 shown]
	ds_load_b128 v[8:11], v116 offset:30240
	s_wait_loadcnt_dscnt 0x0
	v_mul_f64_e32 v[12:13], v[22:23], v[10:11]
	s_delay_alu instid0(VALU_DEP_1) | instskip(SKIP_1) | instid1(VALU_DEP_1)
	v_fma_f64 v[44:45], v[20:21], v[8:9], v[12:13]
	v_mul_f64_e32 v[8:9], v[22:23], v[8:9]
	v_fma_f64 v[46:47], v[20:21], v[10:11], -v[8:9]
	ds_load_b128 v[8:11], v116 offset:51840
	s_wait_dscnt 0x0
	v_mul_f64_e32 v[12:13], v[245:246], v[10:11]
	s_delay_alu instid0(VALU_DEP_1) | instskip(SKIP_1) | instid1(VALU_DEP_1)
	v_fma_f64 v[48:49], v[243:244], v[8:9], v[12:13]
	v_mul_f64_e32 v[8:9], v[245:246], v[8:9]
	v_fma_f64 v[50:51], v[243:244], v[10:11], -v[8:9]
	ds_load_b128 v[8:11], v116 offset:32400
	s_wait_dscnt 0x0
	;; [unrolled: 7-line block ×11, first 2 shown]
	v_mul_f64_e32 v[12:13], v[211:212], v[10:11]
	s_delay_alu instid0(VALU_DEP_1) | instskip(SKIP_2) | instid1(VALU_DEP_2)
	v_fma_f64 v[36:37], v[209:210], v[8:9], v[12:13]
	v_mul_f64_e32 v[8:9], v[211:212], v[8:9]
	v_add_f64_e32 v[12:13], v[0:1], v[4:5]
	v_fma_f64 v[38:39], v[209:210], v[10:11], -v[8:9]
	ds_load_b128 v[8:11], v116
	s_wait_dscnt 0x0
	v_fma_f64 v[14:15], v[12:13], -0.5, v[8:9]
	v_add_f64_e32 v[12:13], v[2:3], v[6:7]
	v_add_f64_e32 v[8:9], v[8:9], v[0:1]
	v_add_f64_e64 v[0:1], v[0:1], -v[4:5]
	s_delay_alu instid0(VALU_DEP_3) | instskip(SKIP_4) | instid1(VALU_DEP_4)
	v_fma_f64 v[74:75], v[12:13], -0.5, v[10:11]
	v_add_f64_e32 v[10:11], v[10:11], v[2:3]
	v_add_f64_e64 v[2:3], v[2:3], -v[6:7]
	v_add_f64_e32 v[68:69], v[8:9], v[4:5]
	v_add_f64_e32 v[4:5], v[16:17], v[76:77]
	;; [unrolled: 1-line block ×4, first 2 shown]
	v_fma_f64 v[12:13], v[2:3], s[2:3], v[14:15]
	v_fma_f64 v[8:9], v[2:3], s[12:13], v[14:15]
	;; [unrolled: 1-line block ×4, first 2 shown]
	ds_load_b128 v[0:3], v116 offset:2160
	s_wait_dscnt 0x0
	v_fma_f64 v[4:5], v[4:5], -0.5, v[0:1]
	v_add_f64_e32 v[0:1], v[0:1], v[16:17]
	v_fma_f64 v[6:7], v[6:7], -0.5, v[2:3]
	v_add_f64_e32 v[2:3], v[2:3], v[18:19]
	v_add_f64_e64 v[18:19], v[18:19], -v[72:73]
	s_delay_alu instid0(VALU_DEP_2) | instskip(SKIP_2) | instid1(VALU_DEP_4)
	v_add_f64_e32 v[74:75], v[2:3], v[72:73]
	v_add_f64_e32 v[72:73], v[0:1], v[76:77]
	v_add_f64_e64 v[0:1], v[16:17], -v[76:77]
	v_fma_f64 v[76:77], v[18:19], s[2:3], v[4:5]
	v_fma_f64 v[80:81], v[18:19], s[12:13], v[4:5]
	v_add_f64_e32 v[4:5], v[88:89], v[90:91]
	v_add_f64_e64 v[16:17], v[84:85], -v[86:87]
	v_fma_f64 v[78:79], v[0:1], s[12:13], v[6:7]
	v_fma_f64 v[82:83], v[0:1], s[2:3], v[6:7]
	ds_load_b128 v[0:3], v116 offset:4320
	v_add_f64_e32 v[6:7], v[84:85], v[86:87]
	s_wait_dscnt 0x0
	v_fma_f64 v[4:5], v[4:5], -0.5, v[0:1]
	v_add_f64_e32 v[0:1], v[0:1], v[88:89]
	s_delay_alu instid0(VALU_DEP_3) | instskip(SKIP_1) | instid1(VALU_DEP_4)
	v_fma_f64 v[6:7], v[6:7], -0.5, v[2:3]
	v_add_f64_e32 v[2:3], v[2:3], v[84:85]
	v_fma_f64 v[92:93], v[16:17], s[12:13], v[4:5]
	s_delay_alu instid0(VALU_DEP_4)
	v_add_f64_e32 v[84:85], v[0:1], v[90:91]
	v_add_f64_e64 v[0:1], v[88:89], -v[90:91]
	v_fma_f64 v[88:89], v[16:17], s[2:3], v[4:5]
	v_add_f64_e32 v[4:5], v[100:101], v[102:103]
	v_add_f64_e64 v[16:17], v[96:97], -v[98:99]
	v_add_f64_e32 v[86:87], v[2:3], v[86:87]
	v_fma_f64 v[90:91], v[0:1], s[12:13], v[6:7]
	v_fma_f64 v[94:95], v[0:1], s[2:3], v[6:7]
	ds_load_b128 v[0:3], v116 offset:6480
	v_add_f64_e32 v[6:7], v[96:97], v[98:99]
	s_wait_dscnt 0x0
	v_fma_f64 v[4:5], v[4:5], -0.5, v[0:1]
	v_add_f64_e32 v[0:1], v[0:1], v[100:101]
	s_delay_alu instid0(VALU_DEP_3) | instskip(SKIP_1) | instid1(VALU_DEP_4)
	v_fma_f64 v[6:7], v[6:7], -0.5, v[2:3]
	v_add_f64_e32 v[2:3], v[2:3], v[96:97]
	v_fma_f64 v[104:105], v[16:17], s[12:13], v[4:5]
	s_delay_alu instid0(VALU_DEP_4) | instskip(SKIP_3) | instid1(VALU_DEP_3)
	v_add_f64_e32 v[96:97], v[0:1], v[102:103]
	v_add_f64_e64 v[0:1], v[100:101], -v[102:103]
	v_fma_f64 v[100:101], v[16:17], s[2:3], v[4:5]
	v_add_f64_e32 v[98:99], v[2:3], v[98:99]
	v_fma_f64 v[102:103], v[0:1], s[12:13], v[6:7]
	v_fma_f64 v[106:107], v[0:1], s[2:3], v[6:7]
	ds_load_b128 v[108:111], v116 offset:8640
	ds_load_b128 v[112:115], v116 offset:10800
	;; [unrolled: 1-line block ×6, first 2 shown]
	global_wb scope:SCOPE_SE
	s_wait_dscnt 0x0
	s_barrier_signal -1
	s_barrier_wait -1
	global_inv scope:SCOPE_SE
	ds_store_b128 v116, v[68:71]
	ds_store_b128 v116, v[72:75] offset:2160
	ds_store_b128 v116, v[84:87] offset:4320
	;; [unrolled: 1-line block ×8, first 2 shown]
	scratch_load_b32 v8, off, off offset:1776 th:TH_LOAD_LU ; 4-byte Folded Reload
	s_wait_loadcnt 0x0
	ds_store_b128 v8, v[96:99]
	ds_store_b128 v8, v[100:103] offset:7200
	ds_store_b128 v8, v[104:107] offset:14400
	v_add_f64_e32 v[8:9], v[44:45], v[48:49]
	v_add_f64_e32 v[12:13], v[108:109], v[44:45]
	;; [unrolled: 1-line block ×4, first 2 shown]
	s_delay_alu instid0(VALU_DEP_4) | instskip(SKIP_1) | instid1(VALU_DEP_1)
	v_fma_f64 v[14:15], v[8:9], -0.5, v[108:109]
	v_add_f64_e32 v[8:9], v[46:47], v[50:51]
	v_fma_f64 v[68:69], v[8:9], -0.5, v[110:111]
	v_add_f64_e32 v[8:9], v[110:111], v[46:47]
	v_add_f64_e64 v[46:47], v[46:47], -v[50:51]
	s_delay_alu instid0(VALU_DEP_2) | instskip(SKIP_2) | instid1(VALU_DEP_4)
	v_add_f64_e32 v[10:11], v[8:9], v[50:51]
	v_add_f64_e32 v[8:9], v[12:13], v[48:49]
	v_add_f64_e64 v[48:49], v[44:45], -v[48:49]
	v_fma_f64 v[12:13], v[46:47], s[2:3], v[14:15]
	v_fma_f64 v[44:45], v[46:47], s[12:13], v[14:15]
	s_delay_alu instid0(VALU_DEP_3) | instskip(SKIP_2) | instid1(VALU_DEP_1)
	v_fma_f64 v[14:15], v[48:49], s[12:13], v[68:69]
	v_fma_f64 v[46:47], v[48:49], s[2:3], v[68:69]
	v_add_f64_e32 v[48:49], v[52:53], v[62:63]
	v_fma_f64 v[68:69], v[48:49], -0.5, v[112:113]
	v_add_f64_e32 v[48:49], v[54:55], v[66:67]
	s_delay_alu instid0(VALU_DEP_1) | instskip(SKIP_2) | instid1(VALU_DEP_2)
	v_fma_f64 v[70:71], v[48:49], -0.5, v[114:115]
	v_add_f64_e32 v[48:49], v[114:115], v[54:55]
	v_add_f64_e64 v[54:55], v[54:55], -v[66:67]
	v_add_f64_e32 v[50:51], v[48:49], v[66:67]
	v_add_f64_e32 v[48:49], v[72:73], v[62:63]
	v_add_f64_e64 v[62:63], v[52:53], -v[62:63]
	s_delay_alu instid0(VALU_DEP_4) | instskip(SKIP_1) | instid1(VALU_DEP_3)
	v_fma_f64 v[52:53], v[54:55], s[2:3], v[68:69]
	v_fma_f64 v[66:67], v[54:55], s[12:13], v[68:69]
	;; [unrolled: 1-line block ×4, first 2 shown]
	ds_store_b128 v116, v[8:11] offset:23040
	ds_store_b128 v116, v[12:15] offset:30240
	ds_store_b128 v116, v[44:47] offset:37440
	ds_store_b128 v116, v[48:51] offset:25200
	ds_store_b128 v116, v[52:55] offset:32400
	ds_store_b128 v116, v[66:69] offset:39600
	scratch_load_b32 v8, off, off offset:1772 th:TH_LOAD_LU ; 4-byte Folded Reload
	v_add_f64_e32 v[62:63], v[56:57], v[60:61]
	v_add_f64_e32 v[12:13], v[16:17], v[26:27]
	s_delay_alu instid0(VALU_DEP_2) | instskip(SKIP_1) | instid1(VALU_DEP_1)
	v_fma_f64 v[70:71], v[62:63], -0.5, v[117:118]
	v_add_f64_e32 v[62:63], v[58:59], v[64:65]
	v_fma_f64 v[72:73], v[62:63], -0.5, v[119:120]
	v_add_f64_e32 v[62:63], v[119:120], v[58:59]
	v_add_f64_e64 v[58:59], v[58:59], -v[64:65]
	s_delay_alu instid0(VALU_DEP_2) | instskip(SKIP_2) | instid1(VALU_DEP_4)
	v_add_f64_e32 v[64:65], v[62:63], v[64:65]
	v_add_f64_e32 v[62:63], v[74:75], v[60:61]
	v_add_f64_e64 v[60:61], v[56:57], -v[60:61]
	v_fma_f64 v[56:57], v[58:59], s[2:3], v[70:71]
	v_fma_f64 v[70:71], v[58:59], s[12:13], v[70:71]
	s_delay_alu instid0(VALU_DEP_3)
	v_fma_f64 v[58:59], v[60:61], s[12:13], v[72:73]
	v_fma_f64 v[72:73], v[60:61], s[2:3], v[72:73]
	s_wait_loadcnt 0x0
	ds_store_b128 v8, v[62:65]
	ds_store_b128 v8, v[56:59] offset:7200
	ds_store_b128 v8, v[70:73] offset:14400
	v_add_f64_e32 v[8:9], v[26:27], v[40:41]
	s_delay_alu instid0(VALU_DEP_1) | instskip(SKIP_2) | instid1(VALU_DEP_2)
	v_fma_f64 v[14:15], v[8:9], -0.5, v[16:17]
	v_add_f64_e32 v[8:9], v[32:33], v[42:43]
	v_add_f64_e64 v[16:17], v[32:33], -v[42:43]
	v_fma_f64 v[44:45], v[8:9], -0.5, v[18:19]
	v_add_f64_e32 v[8:9], v[18:19], v[32:33]
	v_add_f64_e64 v[18:19], v[26:27], -v[40:41]
	scratch_load_b32 v26, off, off offset:1768 th:TH_LOAD_LU ; 4-byte Folded Reload
	v_add_f64_e32 v[10:11], v[8:9], v[42:43]
	v_add_f64_e32 v[8:9], v[12:13], v[40:41]
	v_fma_f64 v[12:13], v[16:17], s[2:3], v[14:15]
	v_fma_f64 v[16:17], v[16:17], s[12:13], v[14:15]
	;; [unrolled: 1-line block ×4, first 2 shown]
	s_wait_loadcnt 0x0
	ds_store_b128 v26, v[8:11] offset:43200
	ds_store_b128 v26, v[12:15] offset:50400
	;; [unrolled: 1-line block ×3, first 2 shown]
	v_add_f64_e32 v[8:9], v[24:25], v[30:31]
	v_add_f64_e64 v[12:13], v[28:29], -v[34:35]
	v_add_f64_e64 v[16:17], v[24:25], -v[30:31]
	s_delay_alu instid0(VALU_DEP_3) | instskip(SKIP_2) | instid1(VALU_DEP_2)
	v_fma_f64 v[10:11], v[8:9], -0.5, v[4:5]
	v_add_f64_e32 v[8:9], v[28:29], v[34:35]
	v_add_f64_e32 v[4:5], v[4:5], v[24:25]
	v_fma_f64 v[14:15], v[8:9], -0.5, v[6:7]
	s_delay_alu instid0(VALU_DEP_4)
	v_fma_f64 v[8:9], v[12:13], s[2:3], v[10:11]
	v_fma_f64 v[12:13], v[12:13], s[12:13], v[10:11]
	v_add_f64_e32 v[6:7], v[6:7], v[28:29]
	v_add_f64_e32 v[4:5], v[4:5], v[30:31]
	v_fma_f64 v[10:11], v[16:17], s[12:13], v[14:15]
	v_fma_f64 v[14:15], v[16:17], s[2:3], v[14:15]
	scratch_load_b32 v16, off, off offset:1764 th:TH_LOAD_LU ; 4-byte Folded Reload
	v_add_f64_e32 v[6:7], v[6:7], v[34:35]
	s_wait_loadcnt 0x0
	ds_store_b128 v16, v[4:7] offset:43200
	ds_store_b128 v16, v[8:11] offset:50400
	ds_store_b128 v16, v[12:15] offset:57600
	v_add_f64_e32 v[4:5], v[20:21], v[36:37]
	v_add_f64_e64 v[8:9], v[22:23], -v[38:39]
	v_add_f64_e64 v[12:13], v[20:21], -v[36:37]
	s_delay_alu instid0(VALU_DEP_3) | instskip(SKIP_2) | instid1(VALU_DEP_2)
	v_fma_f64 v[6:7], v[4:5], -0.5, v[0:1]
	v_add_f64_e32 v[4:5], v[22:23], v[38:39]
	v_add_f64_e32 v[0:1], v[0:1], v[20:21]
	v_fma_f64 v[10:11], v[4:5], -0.5, v[2:3]
	s_delay_alu instid0(VALU_DEP_4)
	v_fma_f64 v[4:5], v[8:9], s[2:3], v[6:7]
	v_fma_f64 v[8:9], v[8:9], s[12:13], v[6:7]
	v_add_f64_e32 v[2:3], v[2:3], v[22:23]
	v_add_f64_e32 v[0:1], v[0:1], v[36:37]
	v_fma_f64 v[6:7], v[12:13], s[12:13], v[10:11]
	v_fma_f64 v[10:11], v[12:13], s[2:3], v[10:11]
	scratch_load_b32 v12, off, off offset:1760 th:TH_LOAD_LU ; 4-byte Folded Reload
	v_add_f64_e32 v[2:3], v[2:3], v[38:39]
	s_wait_loadcnt 0x0
	ds_store_b128 v12, v[0:3] offset:43200
	ds_store_b128 v12, v[4:7] offset:50400
	;; [unrolled: 1-line block ×3, first 2 shown]
	global_wb scope:SCOPE_SE
	s_wait_dscnt 0x0
	s_barrier_signal -1
	s_barrier_wait -1
	global_inv scope:SCOPE_SE
	ds_load_b128 v[2:5], v116 offset:21600
	ds_load_b128 v[6:9], v116 offset:43200
	s_wait_dscnt 0x1
	v_mul_f64_e32 v[0:1], v[135:136], v[4:5]
	s_delay_alu instid0(VALU_DEP_1) | instskip(SKIP_1) | instid1(VALU_DEP_1)
	v_fma_f64 v[0:1], v[133:134], v[2:3], v[0:1]
	v_mul_f64_e32 v[2:3], v[135:136], v[2:3]
	v_fma_f64 v[2:3], v[133:134], v[4:5], -v[2:3]
	s_wait_dscnt 0x0
	v_mul_f64_e32 v[4:5], v[131:132], v[8:9]
	s_delay_alu instid0(VALU_DEP_1) | instskip(SKIP_1) | instid1(VALU_DEP_2)
	v_fma_f64 v[4:5], v[129:130], v[6:7], v[4:5]
	v_mul_f64_e32 v[6:7], v[131:132], v[6:7]
	v_add_f64_e64 v[28:29], v[0:1], -v[4:5]
	s_delay_alu instid0(VALU_DEP_2) | instskip(SKIP_4) | instid1(VALU_DEP_2)
	v_fma_f64 v[6:7], v[129:130], v[8:9], -v[6:7]
	ds_load_b128 v[8:11], v116 offset:23760
	s_wait_dscnt 0x0
	v_mul_f64_e32 v[12:13], v[203:204], v[10:11]
	v_add_f64_e32 v[14:15], v[2:3], v[6:7]
	v_fma_f64 v[16:17], v[201:202], v[8:9], v[12:13]
	v_mul_f64_e32 v[8:9], v[203:204], v[8:9]
	s_delay_alu instid0(VALU_DEP_1) | instskip(SKIP_3) | instid1(VALU_DEP_1)
	v_fma_f64 v[18:19], v[201:202], v[10:11], -v[8:9]
	ds_load_b128 v[8:11], v116 offset:45360
	s_wait_dscnt 0x0
	v_mul_f64_e32 v[12:13], v[207:208], v[10:11]
	v_fma_f64 v[20:21], v[205:206], v[8:9], v[12:13]
	v_mul_f64_e32 v[8:9], v[207:208], v[8:9]
	s_delay_alu instid0(VALU_DEP_1) | instskip(SKIP_3) | instid1(VALU_DEP_1)
	v_fma_f64 v[22:23], v[205:206], v[10:11], -v[8:9]
	ds_load_b128 v[8:11], v116 offset:25920
	s_wait_dscnt 0x0
	v_mul_f64_e32 v[12:13], v[195:196], v[10:11]
	;; [unrolled: 7-line block ×9, first 2 shown]
	v_fma_f64 v[92:93], v[181:182], v[8:9], v[12:13]
	v_mul_f64_e32 v[8:9], v[183:184], v[8:9]
	s_delay_alu instid0(VALU_DEP_1) | instskip(SKIP_4) | instid1(VALU_DEP_2)
	v_fma_f64 v[94:95], v[181:182], v[10:11], -v[8:9]
	ds_load_b128 v[8:11], v116 offset:34560
	s_wait_dscnt 0x0
	v_mul_f64_e32 v[12:13], v[163:164], v[10:11]
	v_add_f64_e32 v[106:107], v[82:83], v[94:95]
	v_fma_f64 v[84:85], v[161:162], v[8:9], v[12:13]
	v_mul_f64_e32 v[8:9], v[163:164], v[8:9]
	s_delay_alu instid0(VALU_DEP_1) | instskip(SKIP_3) | instid1(VALU_DEP_1)
	v_fma_f64 v[86:87], v[161:162], v[10:11], -v[8:9]
	ds_load_b128 v[8:11], v116 offset:56160
	s_wait_dscnt 0x0
	v_mul_f64_e32 v[12:13], v[155:156], v[10:11]
	v_fma_f64 v[88:89], v[153:154], v[8:9], v[12:13]
	v_mul_f64_e32 v[8:9], v[155:156], v[8:9]
	s_delay_alu instid0(VALU_DEP_2) | instskip(NEXT) | instid1(VALU_DEP_2)
	v_add_f64_e32 v[108:109], v[84:85], v[88:89]
	v_fma_f64 v[90:91], v[153:154], v[10:11], -v[8:9]
	ds_load_b128 v[8:11], v116 offset:36720
	s_wait_dscnt 0x0
	v_mul_f64_e32 v[12:13], v[159:160], v[10:11]
	v_add_f64_e32 v[110:111], v[86:87], v[90:91]
	s_delay_alu instid0(VALU_DEP_2) | instskip(SKIP_1) | instid1(VALU_DEP_1)
	v_fma_f64 v[64:65], v[157:158], v[8:9], v[12:13]
	v_mul_f64_e32 v[8:9], v[159:160], v[8:9]
	v_fma_f64 v[66:67], v[157:158], v[10:11], -v[8:9]
	ds_load_b128 v[8:11], v116 offset:58320
	s_wait_dscnt 0x0
	v_mul_f64_e32 v[12:13], v[167:168], v[10:11]
	s_delay_alu instid0(VALU_DEP_1) | instskip(SKIP_1) | instid1(VALU_DEP_2)
	v_fma_f64 v[76:77], v[165:166], v[8:9], v[12:13]
	v_mul_f64_e32 v[8:9], v[167:168], v[8:9]
	v_add_f64_e32 v[112:113], v[64:65], v[76:77]
	s_delay_alu instid0(VALU_DEP_2) | instskip(SKIP_4) | instid1(VALU_DEP_2)
	v_fma_f64 v[78:79], v[165:166], v[10:11], -v[8:9]
	ds_load_b128 v[8:11], v116 offset:38880
	s_wait_dscnt 0x0
	v_mul_f64_e32 v[12:13], v[147:148], v[10:11]
	v_add_f64_e32 v[114:115], v[66:67], v[78:79]
	v_fma_f64 v[68:69], v[145:146], v[8:9], v[12:13]
	v_mul_f64_e32 v[8:9], v[147:148], v[8:9]
	s_delay_alu instid0(VALU_DEP_1) | instskip(SKIP_3) | instid1(VALU_DEP_1)
	v_fma_f64 v[70:71], v[145:146], v[10:11], -v[8:9]
	ds_load_b128 v[8:11], v116 offset:60480
	s_wait_dscnt 0x0
	v_mul_f64_e32 v[12:13], v[139:140], v[10:11]
	v_fma_f64 v[72:73], v[137:138], v[8:9], v[12:13]
	v_mul_f64_e32 v[8:9], v[139:140], v[8:9]
	s_delay_alu instid0(VALU_DEP_2) | instskip(NEXT) | instid1(VALU_DEP_2)
	v_add_f64_e32 v[117:118], v[68:69], v[72:73]
	v_fma_f64 v[74:75], v[137:138], v[10:11], -v[8:9]
	ds_load_b128 v[8:11], v116 offset:41040
	s_wait_dscnt 0x0
	v_mul_f64_e32 v[12:13], v[143:144], v[10:11]
	v_add_f64_e32 v[119:120], v[70:71], v[74:75]
	s_delay_alu instid0(VALU_DEP_2) | instskip(SKIP_1) | instid1(VALU_DEP_1)
	v_fma_f64 v[56:57], v[141:142], v[8:9], v[12:13]
	v_mul_f64_e32 v[8:9], v[143:144], v[8:9]
	v_fma_f64 v[58:59], v[141:142], v[10:11], -v[8:9]
	ds_load_b128 v[8:11], v116 offset:62640
	s_wait_dscnt 0x0
	v_mul_f64_e32 v[12:13], v[151:152], v[10:11]
	s_delay_alu instid0(VALU_DEP_1) | instskip(SKIP_2) | instid1(VALU_DEP_3)
	v_fma_f64 v[60:61], v[149:150], v[8:9], v[12:13]
	v_mul_f64_e32 v[8:9], v[151:152], v[8:9]
	v_add_f64_e32 v[12:13], v[0:1], v[4:5]
	v_add_f64_e32 v[121:122], v[56:57], v[60:61]
	s_delay_alu instid0(VALU_DEP_3)
	v_fma_f64 v[62:63], v[149:150], v[10:11], -v[8:9]
	ds_load_b128 v[8:11], v116
	s_wait_dscnt 0x0
	v_fma_f64 v[12:13], v[12:13], -0.5, v[8:9]
	v_fma_f64 v[14:15], v[14:15], -0.5, v[10:11]
	v_add_f64_e32 v[10:11], v[10:11], v[2:3]
	v_add_f64_e32 v[8:9], v[8:9], v[0:1]
	v_add_f64_e64 v[2:3], v[2:3], -v[6:7]
	v_add_f64_e32 v[123:124], v[58:59], v[62:63]
	s_delay_alu instid0(VALU_DEP_4) | instskip(NEXT) | instid1(VALU_DEP_4)
	v_add_f64_e32 v[10:11], v[10:11], v[6:7]
	v_add_f64_e32 v[8:9], v[8:9], v[4:5]
	s_delay_alu instid0(VALU_DEP_4)
	v_fma_f64 v[4:5], v[2:3], s[2:3], v[12:13]
	v_fma_f64 v[0:1], v[2:3], s[12:13], v[12:13]
	;; [unrolled: 1-line block ×4, first 2 shown]
	v_add_f64_e32 v[28:29], v[16:17], v[20:21]
	ds_load_b128 v[12:15], v116 offset:2160
	s_wait_dscnt 0x0
	v_fma_f64 v[34:35], v[28:29], -0.5, v[12:13]
	v_add_f64_e32 v[28:29], v[18:19], v[22:23]
	v_add_f64_e32 v[12:13], v[12:13], v[16:17]
	s_delay_alu instid0(VALU_DEP_2) | instskip(SKIP_2) | instid1(VALU_DEP_4)
	v_fma_f64 v[38:39], v[28:29], -0.5, v[14:15]
	v_add_f64_e32 v[14:15], v[14:15], v[18:19]
	v_add_f64_e64 v[18:19], v[18:19], -v[22:23]
	v_add_f64_e32 v[28:29], v[12:13], v[20:21]
	s_delay_alu instid0(VALU_DEP_3) | instskip(SKIP_1) | instid1(VALU_DEP_4)
	v_add_f64_e32 v[30:31], v[14:15], v[22:23]
	v_add_f64_e64 v[14:15], v[16:17], -v[20:21]
	v_fma_f64 v[16:17], v[18:19], s[2:3], v[34:35]
	v_fma_f64 v[12:13], v[18:19], s[12:13], v[34:35]
	v_add_f64_e32 v[34:35], v[24:25], v[36:37]
	ds_load_b128 v[20:23], v116 offset:4320
	v_fma_f64 v[18:19], v[14:15], s[12:13], v[38:39]
	v_fma_f64 v[14:15], v[14:15], s[2:3], v[38:39]
	s_wait_dscnt 0x0
	v_fma_f64 v[38:39], v[34:35], -0.5, v[20:21]
	v_add_f64_e32 v[34:35], v[26:27], v[32:33]
	v_add_f64_e32 v[20:21], v[20:21], v[24:25]
	s_delay_alu instid0(VALU_DEP_2) | instskip(SKIP_2) | instid1(VALU_DEP_2)
	v_fma_f64 v[52:53], v[34:35], -0.5, v[22:23]
	v_add_f64_e32 v[22:23], v[22:23], v[26:27]
	v_add_f64_e64 v[26:27], v[26:27], -v[32:33]
	v_add_f64_e32 v[34:35], v[22:23], v[32:33]
	v_add_f64_e64 v[22:23], v[24:25], -v[36:37]
	v_add_f64_e32 v[32:33], v[20:21], v[36:37]
	s_delay_alu instid0(VALU_DEP_4)
	v_fma_f64 v[24:25], v[26:27], s[2:3], v[38:39]
	v_fma_f64 v[20:21], v[26:27], s[12:13], v[38:39]
	ds_load_b128 v[36:39], v116 offset:6480
	v_fma_f64 v[26:27], v[22:23], s[12:13], v[52:53]
	v_fma_f64 v[22:23], v[22:23], s[2:3], v[52:53]
	v_add_f64_e32 v[52:53], v[40:41], v[44:45]
	s_wait_dscnt 0x0
	s_delay_alu instid0(VALU_DEP_1) | instskip(SKIP_2) | instid1(VALU_DEP_2)
	v_fma_f64 v[98:99], v[52:53], -0.5, v[36:37]
	v_add_f64_e32 v[52:53], v[42:43], v[46:47]
	v_add_f64_e32 v[36:37], v[36:37], v[40:41]
	v_fma_f64 v[102:103], v[52:53], -0.5, v[38:39]
	v_add_f64_e32 v[38:39], v[38:39], v[42:43]
	v_add_f64_e64 v[42:43], v[42:43], -v[46:47]
	s_delay_alu instid0(VALU_DEP_4) | instskip(NEXT) | instid1(VALU_DEP_3)
	v_add_f64_e32 v[52:53], v[36:37], v[44:45]
	v_add_f64_e32 v[54:55], v[38:39], v[46:47]
	v_add_f64_e64 v[38:39], v[40:41], -v[44:45]
	s_delay_alu instid0(VALU_DEP_4)
	v_fma_f64 v[40:41], v[42:43], s[2:3], v[98:99]
	v_fma_f64 v[36:37], v[42:43], s[12:13], v[98:99]
	v_add_f64_e32 v[98:99], v[48:49], v[100:101]
	ds_load_b128 v[44:47], v116 offset:8640
	v_fma_f64 v[42:43], v[38:39], s[12:13], v[102:103]
	v_fma_f64 v[38:39], v[38:39], s[2:3], v[102:103]
	s_wait_dscnt 0x0
	v_fma_f64 v[102:103], v[98:99], -0.5, v[44:45]
	v_add_f64_e32 v[98:99], v[50:51], v[96:97]
	v_add_f64_e32 v[44:45], v[44:45], v[48:49]
	s_delay_alu instid0(VALU_DEP_2) | instskip(SKIP_2) | instid1(VALU_DEP_2)
	v_fma_f64 v[104:105], v[98:99], -0.5, v[46:47]
	v_add_f64_e32 v[46:47], v[46:47], v[50:51]
	v_add_f64_e64 v[50:51], v[50:51], -v[96:97]
	v_add_f64_e32 v[98:99], v[46:47], v[96:97]
	v_add_f64_e64 v[46:47], v[48:49], -v[100:101]
	v_add_f64_e32 v[96:97], v[44:45], v[100:101]
	s_delay_alu instid0(VALU_DEP_4)
	v_fma_f64 v[48:49], v[50:51], s[2:3], v[102:103]
	v_fma_f64 v[44:45], v[50:51], s[12:13], v[102:103]
	ds_load_b128 v[100:103], v116 offset:10800
	s_wait_dscnt 0x0
	v_fma_f64 v[106:107], v[106:107], -0.5, v[102:103]
	v_add_f64_e32 v[102:103], v[102:103], v[82:83]
	v_add_f64_e64 v[82:83], v[82:83], -v[94:95]
	v_fma_f64 v[50:51], v[46:47], s[12:13], v[104:105]
	v_fma_f64 v[46:47], v[46:47], s[2:3], v[104:105]
	v_add_f64_e32 v[104:105], v[80:81], v[92:93]
	v_add_f64_e32 v[102:103], v[102:103], v[94:95]
	v_add_f64_e64 v[94:95], v[80:81], -v[92:93]
	s_delay_alu instid0(VALU_DEP_3) | instskip(SKIP_1) | instid1(VALU_DEP_2)
	v_fma_f64 v[104:105], v[104:105], -0.5, v[100:101]
	v_add_f64_e32 v[100:101], v[100:101], v[80:81]
	v_fma_f64 v[80:81], v[82:83], s[2:3], v[104:105]
	s_delay_alu instid0(VALU_DEP_2)
	v_add_f64_e32 v[100:101], v[100:101], v[92:93]
	v_fma_f64 v[92:93], v[82:83], s[12:13], v[104:105]
	v_fma_f64 v[82:83], v[94:95], s[12:13], v[106:107]
	v_fma_f64 v[94:95], v[94:95], s[2:3], v[106:107]
	ds_load_b128 v[104:107], v116 offset:12960
	s_wait_dscnt 0x0
	v_fma_f64 v[110:111], v[110:111], -0.5, v[106:107]
	v_add_f64_e32 v[106:107], v[106:107], v[86:87]
	v_fma_f64 v[108:109], v[108:109], -0.5, v[104:105]
	v_add_f64_e32 v[104:105], v[104:105], v[84:85]
	v_add_f64_e64 v[86:87], v[86:87], -v[90:91]
	s_delay_alu instid0(VALU_DEP_4) | instskip(SKIP_1) | instid1(VALU_DEP_4)
	v_add_f64_e32 v[106:107], v[106:107], v[90:91]
	v_add_f64_e64 v[90:91], v[84:85], -v[88:89]
	v_add_f64_e32 v[104:105], v[104:105], v[88:89]
	s_delay_alu instid0(VALU_DEP_4) | instskip(SKIP_1) | instid1(VALU_DEP_4)
	v_fma_f64 v[84:85], v[86:87], s[2:3], v[108:109]
	v_fma_f64 v[88:89], v[86:87], s[12:13], v[108:109]
	v_fma_f64 v[86:87], v[90:91], s[12:13], v[110:111]
	v_fma_f64 v[90:91], v[90:91], s[2:3], v[110:111]
	ds_load_b128 v[108:111], v116 offset:15120
	s_wait_dscnt 0x0
	v_fma_f64 v[114:115], v[114:115], -0.5, v[110:111]
	v_add_f64_e32 v[110:111], v[110:111], v[66:67]
	v_fma_f64 v[112:113], v[112:113], -0.5, v[108:109]
	v_add_f64_e32 v[108:109], v[108:109], v[64:65]
	v_add_f64_e64 v[66:67], v[66:67], -v[78:79]
	s_delay_alu instid0(VALU_DEP_4) | instskip(SKIP_1) | instid1(VALU_DEP_4)
	v_add_f64_e32 v[110:111], v[110:111], v[78:79]
	v_add_f64_e64 v[78:79], v[64:65], -v[76:77]
	v_add_f64_e32 v[108:109], v[108:109], v[76:77]
	s_delay_alu instid0(VALU_DEP_4) | instskip(SKIP_1) | instid1(VALU_DEP_4)
	v_fma_f64 v[64:65], v[66:67], s[2:3], v[112:113]
	;; [unrolled: 16-line block ×4, first 2 shown]
	v_fma_f64 v[60:61], v[58:59], s[12:13], v[121:122]
	v_fma_f64 v[58:59], v[62:63], s[12:13], v[123:124]
	;; [unrolled: 1-line block ×3, first 2 shown]
	ds_store_b128 v116, v[8:11]
	ds_store_b128 v116, v[28:31] offset:2160
	ds_store_b128 v116, v[32:35] offset:4320
	;; [unrolled: 1-line block ×29, first 2 shown]
	global_wb scope:SCOPE_SE
	s_wait_dscnt 0x0
	s_barrier_signal -1
	s_barrier_wait -1
	global_inv scope:SCOPE_SE
	s_clause 0x1
	scratch_load_b128 v[6:9], off, off offset:376 th:TH_LOAD_LU
	scratch_load_b128 v[121:124], off, off offset:296 th:TH_LOAD_LU
	ds_load_b128 v[0:3], v116
	s_clause 0xb
	scratch_load_b128 v[40:43], off, off offset:440 th:TH_LOAD_LU
	scratch_load_b128 v[44:47], off, off offset:472 th:TH_LOAD_LU
	;; [unrolled: 1-line block ×12, first 2 shown]
	s_mov_b32 s2, 0xc0898b71
	s_mov_b32 s3, 0x3f302e85
	s_wait_loadcnt_dscnt 0xd00
	v_mul_f64_e32 v[4:5], v[8:9], v[2:3]
	s_delay_alu instid0(VALU_DEP_1) | instskip(SKIP_2) | instid1(VALU_DEP_2)
	v_fma_f64 v[28:29], v[6:7], v[0:1], v[4:5]
	v_mul_f64_e32 v[0:1], v[8:9], v[0:1]
	s_wait_alu 0xfffe
	v_mul_f64_e32 v[28:29], s[2:3], v[28:29]
	s_delay_alu instid0(VALU_DEP_2)
	v_fma_f64 v[30:31], v[6:7], v[2:3], -v[0:1]
	scratch_load_b128 v[6:9], off, off offset:360 th:TH_LOAD_LU ; 16-byte Folded Reload
	ds_load_b128 v[0:3], v116 offset:6480
	v_mul_f64_e32 v[30:31], s[2:3], v[30:31]
	s_wait_loadcnt_dscnt 0x0
	v_mul_f64_e32 v[4:5], v[8:9], v[2:3]
	s_delay_alu instid0(VALU_DEP_1) | instskip(SKIP_1) | instid1(VALU_DEP_1)
	v_fma_f64 v[34:35], v[6:7], v[0:1], v[4:5]
	v_mul_f64_e32 v[0:1], v[8:9], v[0:1]
	v_fma_f64 v[38:39], v[6:7], v[2:3], -v[0:1]
	scratch_load_b128 v[6:9], off, off offset:344 th:TH_LOAD_LU ; 16-byte Folded Reload
	ds_load_b128 v[0:3], v116 offset:12960
	s_wait_loadcnt_dscnt 0x0
	v_mul_f64_e32 v[4:5], v[8:9], v[2:3]
	s_delay_alu instid0(VALU_DEP_1) | instskip(SKIP_1) | instid1(VALU_DEP_1)
	v_fma_f64 v[32:33], v[6:7], v[0:1], v[4:5]
	v_mul_f64_e32 v[0:1], v[8:9], v[0:1]
	v_fma_f64 v[36:37], v[6:7], v[2:3], -v[0:1]
	scratch_load_b128 v[6:9], off, off offset:328 th:TH_LOAD_LU ; 16-byte Folded Reload
	ds_load_b128 v[0:3], v116 offset:19440
	s_wait_loadcnt_dscnt 0x0
	v_mul_f64_e32 v[4:5], v[8:9], v[2:3]
	s_delay_alu instid0(VALU_DEP_1) | instskip(SKIP_1) | instid1(VALU_DEP_2)
	v_fma_f64 v[24:25], v[6:7], v[0:1], v[4:5]
	v_mul_f64_e32 v[0:1], v[8:9], v[0:1]
	v_mul_f64_e32 v[24:25], s[2:3], v[24:25]
	s_delay_alu instid0(VALU_DEP_2)
	v_fma_f64 v[26:27], v[6:7], v[2:3], -v[0:1]
	scratch_load_b128 v[6:9], off, off offset:312 th:TH_LOAD_LU ; 16-byte Folded Reload
	ds_load_b128 v[0:3], v116 offset:25920
	v_mul_f64_e32 v[26:27], s[2:3], v[26:27]
	s_wait_loadcnt_dscnt 0x0
	v_mul_f64_e32 v[4:5], v[8:9], v[2:3]
	s_delay_alu instid0(VALU_DEP_1) | instskip(SKIP_1) | instid1(VALU_DEP_2)
	v_fma_f64 v[20:21], v[6:7], v[0:1], v[4:5]
	v_mul_f64_e32 v[0:1], v[8:9], v[0:1]
	v_mul_f64_e32 v[20:21], s[2:3], v[20:21]
	s_delay_alu instid0(VALU_DEP_2)
	v_fma_f64 v[22:23], v[6:7], v[2:3], -v[0:1]
	scratch_load_b128 v[6:9], off, off offset:408 th:TH_LOAD_LU ; 16-byte Folded Reload
	ds_load_b128 v[0:3], v116 offset:32400
	v_mul_f64_e32 v[22:23], s[2:3], v[22:23]
	;; [unrolled: 11-line block ×3, first 2 shown]
	s_wait_loadcnt_dscnt 0x0
	v_mul_f64_e32 v[4:5], v[8:9], v[2:3]
	s_delay_alu instid0(VALU_DEP_1) | instskip(SKIP_1) | instid1(VALU_DEP_2)
	v_fma_f64 v[12:13], v[6:7], v[0:1], v[4:5]
	v_mul_f64_e32 v[0:1], v[8:9], v[0:1]
	v_mul_f64_e32 v[12:13], s[2:3], v[12:13]
	s_delay_alu instid0(VALU_DEP_2) | instskip(SKIP_4) | instid1(VALU_DEP_2)
	v_fma_f64 v[14:15], v[6:7], v[2:3], -v[0:1]
	ds_load_b128 v[0:3], v116 offset:45360
	s_wait_dscnt 0x0
	v_mul_f64_e32 v[4:5], v[42:43], v[2:3]
	v_mul_f64_e32 v[14:15], s[2:3], v[14:15]
	v_fma_f64 v[8:9], v[40:41], v[0:1], v[4:5]
	v_mul_f64_e32 v[0:1], v[42:43], v[0:1]
	s_delay_alu instid0(VALU_DEP_2) | instskip(NEXT) | instid1(VALU_DEP_2)
	v_mul_f64_e32 v[8:9], s[2:3], v[8:9]
	v_fma_f64 v[10:11], v[40:41], v[2:3], -v[0:1]
	scratch_load_b128 v[40:43], off, off offset:456 th:TH_LOAD_LU ; 16-byte Folded Reload
	ds_load_b128 v[0:3], v116 offset:51840
	v_mul_f64_e32 v[10:11], s[2:3], v[10:11]
	s_wait_loadcnt_dscnt 0x0
	v_mul_f64_e32 v[4:5], v[42:43], v[2:3]
	s_delay_alu instid0(VALU_DEP_1) | instskip(SKIP_1) | instid1(VALU_DEP_2)
	v_fma_f64 v[4:5], v[40:41], v[0:1], v[4:5]
	v_mul_f64_e32 v[0:1], v[42:43], v[0:1]
	v_mul_f64_e32 v[4:5], s[2:3], v[4:5]
	s_delay_alu instid0(VALU_DEP_2)
	v_fma_f64 v[6:7], v[40:41], v[2:3], -v[0:1]
	ds_load_b128 v[40:43], v116 offset:58320
	s_wait_dscnt 0x0
	v_mul_f64_e32 v[0:1], v[46:47], v[42:43]
	v_mul_f64_e32 v[2:3], v[46:47], v[40:41]
	scratch_load_b128 v[46:49], off, off offset:8 th:TH_LOAD_LU ; 16-byte Folded Reload
	v_mul_f64_e32 v[6:7], s[2:3], v[6:7]
	v_fma_f64 v[0:1], v[44:45], v[40:41], v[0:1]
	v_fma_f64 v[2:3], v[44:45], v[42:43], -v[2:3]
	ds_load_b128 v[40:43], v116 offset:2160
	v_mul_f64_e32 v[0:1], s[2:3], v[0:1]
	v_mul_f64_e32 v[2:3], s[2:3], v[2:3]
	s_wait_loadcnt_dscnt 0x0
	v_mul_f64_e32 v[44:45], v[48:49], v[42:43]
	s_delay_alu instid0(VALU_DEP_1) | instskip(SKIP_1) | instid1(VALU_DEP_1)
	v_fma_f64 v[76:77], v[46:47], v[40:41], v[44:45]
	v_mul_f64_e32 v[40:41], v[48:49], v[40:41]
	v_fma_f64 v[78:79], v[46:47], v[42:43], -v[40:41]
	scratch_load_b128 v[46:49], off, off offset:24 th:TH_LOAD_LU ; 16-byte Folded Reload
	ds_load_b128 v[40:43], v116 offset:8640
	s_wait_loadcnt_dscnt 0x0
	v_mul_f64_e32 v[44:45], v[48:49], v[42:43]
	s_delay_alu instid0(VALU_DEP_1) | instskip(SKIP_1) | instid1(VALU_DEP_1)
	v_fma_f64 v[70:71], v[46:47], v[40:41], v[44:45]
	v_mul_f64_e32 v[40:41], v[48:49], v[40:41]
	v_fma_f64 v[74:75], v[46:47], v[42:43], -v[40:41]
	scratch_load_b128 v[46:49], off, off offset:40 th:TH_LOAD_LU ; 16-byte Folded Reload
	ds_load_b128 v[40:43], v116 offset:15120
	;; [unrolled: 8-line block ×4, first 2 shown]
	s_wait_loadcnt_dscnt 0x0
	v_mul_f64_e32 v[44:45], v[48:49], v[42:43]
	s_delay_alu instid0(VALU_DEP_1) | instskip(SKIP_1) | instid1(VALU_DEP_1)
	v_fma_f64 v[56:57], v[46:47], v[40:41], v[44:45]
	v_mul_f64_e32 v[40:41], v[48:49], v[40:41]
	v_fma_f64 v[62:63], v[46:47], v[42:43], -v[40:41]
	ds_load_b128 v[40:43], v116 offset:34560
	s_wait_dscnt 0x0
	v_mul_f64_e32 v[44:45], v[52:53], v[42:43]
	s_delay_alu instid0(VALU_DEP_1) | instskip(SKIP_1) | instid1(VALU_DEP_1)
	v_fma_f64 v[48:49], v[50:51], v[40:41], v[44:45]
	v_mul_f64_e32 v[40:41], v[52:53], v[40:41]
	v_fma_f64 v[52:53], v[50:51], v[42:43], -v[40:41]
	ds_load_b128 v[40:43], v116 offset:41040
	s_wait_dscnt 0x0
	v_mul_f64_e32 v[44:45], v[82:83], v[42:43]
	s_delay_alu instid0(VALU_DEP_1) | instskip(SKIP_1) | instid1(VALU_DEP_1)
	v_fma_f64 v[44:45], v[80:81], v[40:41], v[44:45]
	v_mul_f64_e32 v[40:41], v[82:83], v[40:41]
	v_fma_f64 v[46:47], v[80:81], v[42:43], -v[40:41]
	scratch_load_b128 v[80:83], off, off offset:120 th:TH_LOAD_LU ; 16-byte Folded Reload
	ds_load_b128 v[40:43], v116 offset:47520
	s_wait_loadcnt_dscnt 0x0
	v_mul_f64_e32 v[50:51], v[82:83], v[42:43]
	s_delay_alu instid0(VALU_DEP_1) | instskip(SKIP_1) | instid1(VALU_DEP_1)
	v_fma_f64 v[50:51], v[80:81], v[40:41], v[50:51]
	v_mul_f64_e32 v[40:41], v[82:83], v[40:41]
	v_fma_f64 v[54:55], v[80:81], v[42:43], -v[40:41]
	scratch_load_b128 v[80:83], off, off offset:136 th:TH_LOAD_LU ; 16-byte Folded Reload
	ds_load_b128 v[40:43], v116 offset:54000
	s_wait_loadcnt_dscnt 0x0
	v_mul_f64_e32 v[58:59], v[82:83], v[42:43]
	s_delay_alu instid0(VALU_DEP_1) | instskip(SKIP_1) | instid1(VALU_DEP_1)
	v_fma_f64 v[58:59], v[80:81], v[40:41], v[58:59]
	v_mul_f64_e32 v[40:41], v[82:83], v[40:41]
	v_fma_f64 v[64:65], v[80:81], v[42:43], -v[40:41]
	ds_load_b128 v[80:83], v116 offset:60480
	s_wait_dscnt 0x0
	v_mul_f64_e32 v[40:41], v[86:87], v[82:83]
	v_mul_f64_e32 v[42:43], v[86:87], v[80:81]
	scratch_load_b128 v[86:89], off, off offset:184 th:TH_LOAD_LU ; 16-byte Folded Reload
	v_fma_f64 v[40:41], v[84:85], v[80:81], v[40:41]
	v_fma_f64 v[42:43], v[84:85], v[82:83], -v[42:43]
	ds_load_b128 v[82:85], v116 offset:4320
	s_wait_loadcnt_dscnt 0x0
	v_mul_f64_e32 v[80:81], v[88:89], v[84:85]
	s_delay_alu instid0(VALU_DEP_1) | instskip(SKIP_1) | instid1(VALU_DEP_1)
	v_fma_f64 v[80:81], v[86:87], v[82:83], v[80:81]
	v_mul_f64_e32 v[82:83], v[88:89], v[82:83]
	v_fma_f64 v[82:83], v[86:87], v[84:85], -v[82:83]
	ds_load_b128 v[86:89], v116 offset:10800
	s_wait_dscnt 0x0
	v_mul_f64_e32 v[84:85], v[92:93], v[88:89]
	s_delay_alu instid0(VALU_DEP_1) | instskip(SKIP_1) | instid1(VALU_DEP_1)
	v_fma_f64 v[84:85], v[90:91], v[86:87], v[84:85]
	v_mul_f64_e32 v[86:87], v[92:93], v[86:87]
	v_fma_f64 v[86:87], v[90:91], v[88:89], -v[86:87]
	ds_load_b128 v[90:93], v116 offset:17280
	s_wait_dscnt 0x0
	;; [unrolled: 7-line block ×8, first 2 shown]
	v_mul_f64_e32 v[112:113], v[123:124], v[119:120]
	v_mul_f64_e32 v[114:115], v[123:124], v[117:118]
	s_delay_alu instid0(VALU_DEP_2) | instskip(NEXT) | instid1(VALU_DEP_2)
	v_fma_f64 v[112:113], v[121:122], v[117:118], v[112:113]
	v_fma_f64 v[114:115], v[121:122], v[119:120], -v[114:115]
	scratch_load_b128 v[122:125], off, off offset:392 th:TH_LOAD_LU ; 16-byte Folded Reload
	ds_load_b128 v[116:119], v116 offset:62640
	s_wait_loadcnt_dscnt 0x0
	v_mul_f64_e32 v[120:121], v[124:125], v[118:119]
	s_delay_alu instid0(VALU_DEP_1)
	v_fma_f64 v[120:121], v[122:123], v[116:117], v[120:121]
	v_mul_f64_e32 v[116:117], v[124:125], v[116:117]
	scratch_load_b32 v124, off, off offset:488 th:TH_LOAD_LU ; 4-byte Folded Reload
	v_fma_f64 v[116:117], v[122:123], v[118:119], -v[116:117]
	scratch_load_b64 v[122:123], off, off th:TH_LOAD_LU ; 8-byte Folded Reload
	s_wait_loadcnt 0x0
	v_mad_co_u64_u32 v[118:119], null, s6, v122, 0
	s_delay_alu instid0(VALU_DEP_1) | instskip(NEXT) | instid1(VALU_DEP_1)
	v_mad_co_u64_u32 v[122:123], null, s7, v122, v[119:120]
	v_mov_b32_e32 v119, v122
	v_mad_co_u64_u32 v[122:123], null, s4, v124, 0
	s_delay_alu instid0(VALU_DEP_2) | instskip(NEXT) | instid1(VALU_DEP_2)
	v_lshlrev_b64_e32 v[118:119], 4, v[118:119]
	v_mad_co_u64_u32 v[123:124], null, s5, v124, v[123:124]
	s_delay_alu instid0(VALU_DEP_2) | instskip(SKIP_1) | instid1(VALU_DEP_3)
	v_add_co_u32 v124, vcc_lo, s0, v118
	s_wait_alu 0xfffd
	v_add_co_ci_u32_e32 v125, vcc_lo, s1, v119, vcc_lo
	s_mul_u64 s[0:1], s[4:5], 0x1950
	s_mul_i32 s5, s5, 0xffff24a0
	s_delay_alu instid0(VALU_DEP_3) | instskip(SKIP_2) | instid1(VALU_DEP_1)
	v_lshlrev_b64_e32 v[118:119], 4, v[122:123]
	s_wait_alu 0xfffe
	s_sub_co_i32 s5, s5, s4
	v_add_co_u32 v118, vcc_lo, v124, v118
	s_wait_alu 0xfffd
	s_delay_alu instid0(VALU_DEP_2)
	v_add_co_ci_u32_e32 v119, vcc_lo, v125, v119, vcc_lo
	global_store_b128 v[118:119], v[28:31], off
	v_mul_f64_e32 v[28:29], s[2:3], v[34:35]
	v_mul_f64_e32 v[30:31], s[2:3], v[38:39]
	v_add_co_u32 v34, vcc_lo, v118, s0
	s_wait_alu 0xfffd
	v_add_co_ci_u32_e32 v35, vcc_lo, s1, v119, vcc_lo
	v_mul_f64_e32 v[38:39], s[2:3], v[114:115]
	global_store_b128 v[34:35], v[28:31], off
	v_mul_f64_e32 v[28:29], s[2:3], v[32:33]
	v_mul_f64_e32 v[30:31], s[2:3], v[36:37]
	v_add_co_u32 v32, vcc_lo, v34, s0
	s_wait_alu 0xfffd
	v_add_co_ci_u32_e32 v33, vcc_lo, s1, v35, vcc_lo
	v_mul_f64_e32 v[34:35], s[2:3], v[110:111]
	v_mul_f64_e32 v[36:37], s[2:3], v[112:113]
	global_store_b128 v[32:33], v[28:31], off
	v_add_co_u32 v28, vcc_lo, v32, s0
	s_wait_alu 0xfffd
	v_add_co_ci_u32_e32 v29, vcc_lo, s1, v33, vcc_lo
	v_mul_f64_e32 v[30:31], s[2:3], v[106:107]
	v_mul_f64_e32 v[32:33], s[2:3], v[108:109]
	global_store_b128 v[28:29], v[24:27], off
	v_add_co_u32 v24, vcc_lo, v28, s0
	s_wait_alu 0xfffd
	v_add_co_ci_u32_e32 v25, vcc_lo, s1, v29, vcc_lo
	v_mul_f64_e32 v[26:27], s[2:3], v[102:103]
	v_mul_f64_e32 v[28:29], s[2:3], v[104:105]
	global_store_b128 v[24:25], v[20:23], off
	v_add_co_u32 v20, vcc_lo, v24, s0
	s_wait_alu 0xfffd
	v_add_co_ci_u32_e32 v21, vcc_lo, s1, v25, vcc_lo
	v_mul_f64_e32 v[22:23], s[2:3], v[98:99]
	v_mul_f64_e32 v[24:25], s[2:3], v[100:101]
	global_store_b128 v[20:21], v[16:19], off
	v_add_co_u32 v16, vcc_lo, v20, s0
	s_wait_alu 0xfffd
	v_add_co_ci_u32_e32 v17, vcc_lo, s1, v21, vcc_lo
	v_mul_f64_e32 v[18:19], s[2:3], v[94:95]
	v_mul_f64_e32 v[20:21], s[2:3], v[96:97]
	global_store_b128 v[16:17], v[12:15], off
	v_add_co_u32 v12, vcc_lo, v16, s0
	s_wait_alu 0xfffd
	v_add_co_ci_u32_e32 v13, vcc_lo, s1, v17, vcc_lo
	v_mul_f64_e32 v[16:17], s[2:3], v[92:93]
	global_store_b128 v[12:13], v[8:11], off
	v_add_co_u32 v8, vcc_lo, v12, s0
	s_wait_alu 0xfffd
	v_add_co_ci_u32_e32 v9, vcc_lo, s1, v13, vcc_lo
	v_mul_f64_e32 v[10:11], s[2:3], v[64:65]
	global_store_b128 v[8:9], v[4:7], off
	v_add_co_u32 v4, vcc_lo, v8, s0
	s_wait_alu 0xfffd
	v_add_co_ci_u32_e32 v5, vcc_lo, s1, v9, vcc_lo
	v_mul_f64_e32 v[6:7], s[2:3], v[54:55]
	v_mul_f64_e32 v[8:9], s[2:3], v[58:59]
	global_store_b128 v[4:5], v[0:3], off
	v_mul_f64_e32 v[0:1], s[2:3], v[76:77]
	v_mul_f64_e32 v[2:3], s[2:3], v[78:79]
	v_mad_co_u64_u32 v[4:5], null, 0xffff24a0, s4, v[4:5]
	s_wait_alu 0xfffe
	s_delay_alu instid0(VALU_DEP_1)
	v_add_nc_u32_e32 v5, s5, v5
	global_store_b128 v[4:5], v[0:3], off
	v_mul_f64_e32 v[0:1], s[2:3], v[70:71]
	v_mul_f64_e32 v[2:3], s[2:3], v[74:75]
	v_add_co_u32 v4, vcc_lo, v4, s0
	s_wait_alu 0xfffd
	v_add_co_ci_u32_e32 v5, vcc_lo, s1, v5, vcc_lo
	global_store_b128 v[4:5], v[0:3], off
	v_mul_f64_e32 v[0:1], s[2:3], v[66:67]
	v_mul_f64_e32 v[2:3], s[2:3], v[72:73]
	v_add_co_u32 v4, vcc_lo, v4, s0
	s_wait_alu 0xfffd
	v_add_co_ci_u32_e32 v5, vcc_lo, s1, v5, vcc_lo
	;; [unrolled: 6-line block ×4, first 2 shown]
	s_delay_alu instid0(VALU_DEP_2) | instskip(SKIP_1) | instid1(VALU_DEP_2)
	v_add_co_u32 v12, vcc_lo, v4, s0
	s_wait_alu 0xfffd
	v_add_co_ci_u32_e32 v13, vcc_lo, s1, v5, vcc_lo
	global_store_b128 v[4:5], v[0:3], off
	v_mul_f64_e32 v[0:1], s[2:3], v[48:49]
	v_mul_f64_e32 v[2:3], s[2:3], v[52:53]
	v_mul_f64_e32 v[4:5], s[2:3], v[50:51]
	global_store_b128 v[12:13], v[0:3], off
	v_mul_f64_e32 v[0:1], s[2:3], v[44:45]
	v_mul_f64_e32 v[2:3], s[2:3], v[46:47]
	v_add_co_u32 v12, vcc_lo, v12, s0
	s_wait_alu 0xfffd
	v_add_co_ci_u32_e32 v13, vcc_lo, s1, v13, vcc_lo
	s_delay_alu instid0(VALU_DEP_2) | instskip(SKIP_1) | instid1(VALU_DEP_2)
	v_add_co_u32 v14, vcc_lo, v12, s0
	s_wait_alu 0xfffd
	v_add_co_ci_u32_e32 v15, vcc_lo, s1, v13, vcc_lo
	global_store_b128 v[12:13], v[0:3], off
	v_add_co_u32 v12, vcc_lo, v14, s0
	v_mul_f64_e32 v[0:1], s[2:3], v[40:41]
	v_mul_f64_e32 v[2:3], s[2:3], v[42:43]
	s_wait_alu 0xfffd
	v_add_co_ci_u32_e32 v13, vcc_lo, s1, v15, vcc_lo
	v_add_co_u32 v44, vcc_lo, v12, s0
	global_store_b128 v[14:15], v[4:7], off
	s_wait_alu 0xfffd
	v_add_co_ci_u32_e32 v45, vcc_lo, s1, v13, vcc_lo
	v_mul_f64_e32 v[4:5], s[2:3], v[80:81]
	v_mul_f64_e32 v[6:7], s[2:3], v[82:83]
	global_store_b128 v[12:13], v[8:11], off
	v_mad_co_u64_u32 v[46:47], null, 0xffff24a0, s4, v[44:45]
	v_mul_f64_e32 v[8:9], s[2:3], v[84:85]
	v_mul_f64_e32 v[10:11], s[2:3], v[86:87]
	;; [unrolled: 1-line block ×6, first 2 shown]
	v_add_nc_u32_e32 v47, s5, v47
	v_add_co_u32 v48, vcc_lo, v46, s0
	s_wait_alu 0xfffd
	s_delay_alu instid0(VALU_DEP_2) | instskip(NEXT) | instid1(VALU_DEP_2)
	v_add_co_ci_u32_e32 v49, vcc_lo, s1, v47, vcc_lo
	v_add_co_u32 v50, vcc_lo, v48, s0
	s_wait_alu 0xfffd
	s_delay_alu instid0(VALU_DEP_2) | instskip(NEXT) | instid1(VALU_DEP_2)
	v_add_co_ci_u32_e32 v51, vcc_lo, s1, v49, vcc_lo
	v_add_co_u32 v52, vcc_lo, v50, s0
	s_wait_alu 0xfffd
	s_delay_alu instid0(VALU_DEP_2) | instskip(SKIP_4) | instid1(VALU_DEP_2)
	v_add_co_ci_u32_e32 v53, vcc_lo, s1, v51, vcc_lo
	global_store_b128 v[44:45], v[0:3], off
	v_add_co_u32 v0, vcc_lo, v52, s0
	s_wait_alu 0xfffd
	v_add_co_ci_u32_e32 v1, vcc_lo, s1, v53, vcc_lo
	v_add_co_u32 v2, vcc_lo, v0, s0
	s_wait_alu 0xfffd
	s_delay_alu instid0(VALU_DEP_2)
	v_add_co_ci_u32_e32 v3, vcc_lo, s1, v1, vcc_lo
	global_store_b128 v[46:47], v[4:7], off
	v_add_co_u32 v4, vcc_lo, v2, s0
	s_wait_alu 0xfffd
	v_add_co_ci_u32_e32 v5, vcc_lo, s1, v3, vcc_lo
	global_store_b128 v[48:49], v[8:11], off
	v_add_co_u32 v6, vcc_lo, v4, s0
	s_wait_alu 0xfffd
	;; [unrolled: 4-line block ×3, first 2 shown]
	v_add_co_ci_u32_e32 v9, vcc_lo, s1, v7, vcc_lo
	global_store_b128 v[52:53], v[16:19], off
	global_store_b128 v[0:1], v[20:23], off
	v_add_co_u32 v0, vcc_lo, v8, s0
	s_wait_alu 0xfffd
	v_add_co_ci_u32_e32 v1, vcc_lo, s1, v9, vcc_lo
	global_store_b128 v[2:3], v[24:27], off
	global_store_b128 v[4:5], v[28:31], off
	;; [unrolled: 1-line block ×5, first 2 shown]
.LBB0_2:
	s_nop 0
	s_sendmsg sendmsg(MSG_DEALLOC_VGPRS)
	s_endpgm
	.section	.rodata,"a",@progbits
	.p2align	6, 0x0
	.amdhsa_kernel bluestein_single_back_len4050_dim1_dp_op_CI_CI
		.amdhsa_group_segment_fixed_size 64800
		.amdhsa_private_segment_fixed_size 1784
		.amdhsa_kernarg_size 104
		.amdhsa_user_sgpr_count 2
		.amdhsa_user_sgpr_dispatch_ptr 0
		.amdhsa_user_sgpr_queue_ptr 0
		.amdhsa_user_sgpr_kernarg_segment_ptr 1
		.amdhsa_user_sgpr_dispatch_id 0
		.amdhsa_user_sgpr_private_segment_size 0
		.amdhsa_wavefront_size32 1
		.amdhsa_uses_dynamic_stack 0
		.amdhsa_enable_private_segment 1
		.amdhsa_system_sgpr_workgroup_id_x 1
		.amdhsa_system_sgpr_workgroup_id_y 0
		.amdhsa_system_sgpr_workgroup_id_z 0
		.amdhsa_system_sgpr_workgroup_info 0
		.amdhsa_system_vgpr_workitem_id 0
		.amdhsa_next_free_vgpr 256
		.amdhsa_next_free_sgpr 34
		.amdhsa_reserve_vcc 1
		.amdhsa_float_round_mode_32 0
		.amdhsa_float_round_mode_16_64 0
		.amdhsa_float_denorm_mode_32 3
		.amdhsa_float_denorm_mode_16_64 3
		.amdhsa_fp16_overflow 0
		.amdhsa_workgroup_processor_mode 1
		.amdhsa_memory_ordered 1
		.amdhsa_forward_progress 0
		.amdhsa_round_robin_scheduling 0
		.amdhsa_exception_fp_ieee_invalid_op 0
		.amdhsa_exception_fp_denorm_src 0
		.amdhsa_exception_fp_ieee_div_zero 0
		.amdhsa_exception_fp_ieee_overflow 0
		.amdhsa_exception_fp_ieee_underflow 0
		.amdhsa_exception_fp_ieee_inexact 0
		.amdhsa_exception_int_div_zero 0
	.end_amdhsa_kernel
	.text
.Lfunc_end0:
	.size	bluestein_single_back_len4050_dim1_dp_op_CI_CI, .Lfunc_end0-bluestein_single_back_len4050_dim1_dp_op_CI_CI
                                        ; -- End function
	.section	.AMDGPU.csdata,"",@progbits
; Kernel info:
; codeLenInByte = 47916
; NumSgprs: 36
; NumVgprs: 256
; ScratchSize: 1784
; MemoryBound: 0
; FloatMode: 240
; IeeeMode: 1
; LDSByteSize: 64800 bytes/workgroup (compile time only)
; SGPRBlocks: 4
; VGPRBlocks: 31
; NumSGPRsForWavesPerEU: 36
; NumVGPRsForWavesPerEU: 256
; Occupancy: 3
; WaveLimiterHint : 1
; COMPUTE_PGM_RSRC2:SCRATCH_EN: 1
; COMPUTE_PGM_RSRC2:USER_SGPR: 2
; COMPUTE_PGM_RSRC2:TRAP_HANDLER: 0
; COMPUTE_PGM_RSRC2:TGID_X_EN: 1
; COMPUTE_PGM_RSRC2:TGID_Y_EN: 0
; COMPUTE_PGM_RSRC2:TGID_Z_EN: 0
; COMPUTE_PGM_RSRC2:TIDIG_COMP_CNT: 0
	.text
	.p2alignl 7, 3214868480
	.fill 96, 4, 3214868480
	.type	__hip_cuid_b698c43d51bf05cd,@object ; @__hip_cuid_b698c43d51bf05cd
	.section	.bss,"aw",@nobits
	.globl	__hip_cuid_b698c43d51bf05cd
__hip_cuid_b698c43d51bf05cd:
	.byte	0                               ; 0x0
	.size	__hip_cuid_b698c43d51bf05cd, 1

	.ident	"AMD clang version 19.0.0git (https://github.com/RadeonOpenCompute/llvm-project roc-6.4.0 25133 c7fe45cf4b819c5991fe208aaa96edf142730f1d)"
	.section	".note.GNU-stack","",@progbits
	.addrsig
	.addrsig_sym __hip_cuid_b698c43d51bf05cd
	.amdgpu_metadata
---
amdhsa.kernels:
  - .args:
      - .actual_access:  read_only
        .address_space:  global
        .offset:         0
        .size:           8
        .value_kind:     global_buffer
      - .actual_access:  read_only
        .address_space:  global
        .offset:         8
        .size:           8
        .value_kind:     global_buffer
      - .actual_access:  read_only
        .address_space:  global
        .offset:         16
        .size:           8
        .value_kind:     global_buffer
      - .actual_access:  read_only
        .address_space:  global
        .offset:         24
        .size:           8
        .value_kind:     global_buffer
      - .actual_access:  read_only
        .address_space:  global
        .offset:         32
        .size:           8
        .value_kind:     global_buffer
      - .offset:         40
        .size:           8
        .value_kind:     by_value
      - .address_space:  global
        .offset:         48
        .size:           8
        .value_kind:     global_buffer
      - .address_space:  global
        .offset:         56
        .size:           8
        .value_kind:     global_buffer
      - .address_space:  global
        .offset:         64
        .size:           8
        .value_kind:     global_buffer
      - .address_space:  global
        .offset:         72
        .size:           8
        .value_kind:     global_buffer
      - .offset:         80
        .size:           4
        .value_kind:     by_value
      - .address_space:  global
        .offset:         88
        .size:           8
        .value_kind:     global_buffer
      - .address_space:  global
        .offset:         96
        .size:           8
        .value_kind:     global_buffer
    .group_segment_fixed_size: 64800
    .kernarg_segment_align: 8
    .kernarg_segment_size: 104
    .language:       OpenCL C
    .language_version:
      - 2
      - 0
    .max_flat_workgroup_size: 135
    .name:           bluestein_single_back_len4050_dim1_dp_op_CI_CI
    .private_segment_fixed_size: 1784
    .sgpr_count:     36
    .sgpr_spill_count: 0
    .symbol:         bluestein_single_back_len4050_dim1_dp_op_CI_CI.kd
    .uniform_work_group_size: 1
    .uses_dynamic_stack: false
    .vgpr_count:     256
    .vgpr_spill_count: 445
    .wavefront_size: 32
    .workgroup_processor_mode: 1
amdhsa.target:   amdgcn-amd-amdhsa--gfx1201
amdhsa.version:
  - 1
  - 2
...

	.end_amdgpu_metadata
